;; amdgpu-corpus repo=ROCm/hipCUB kind=compiled arch=gfx906 opt=O3
	.amdgcn_target "amdgcn-amd-amdhsa--gfx906"
	.amdhsa_code_object_version 6
	.section	.text._Z6kernelI6offsetiLj256ELj1ELj100EEvPKT0_PS1_,"axG",@progbits,_Z6kernelI6offsetiLj256ELj1ELj100EEvPKT0_PS1_,comdat
	.protected	_Z6kernelI6offsetiLj256ELj1ELj100EEvPKT0_PS1_ ; -- Begin function _Z6kernelI6offsetiLj256ELj1ELj100EEvPKT0_PS1_
	.globl	_Z6kernelI6offsetiLj256ELj1ELj100EEvPKT0_PS1_
	.p2align	8
	.type	_Z6kernelI6offsetiLj256ELj1ELj100EEvPKT0_PS1_,@function
_Z6kernelI6offsetiLj256ELj1ELj100EEvPKT0_PS1_: ; @_Z6kernelI6offsetiLj256ELj1ELj100EEvPKT0_PS1_
; %bb.0:
	s_load_dwordx4 s[0:3], s[4:5], 0x0
	v_lshl_or_b32 v1, s6, 8, v0
	v_mov_b32_e32 v2, 0
	v_lshlrev_b64 v[1:2], 2, v[1:2]
	s_movk_i32 s4, 0x64
	s_waitcnt lgkmcnt(0)
	v_mov_b32_e32 v4, s1
	v_add_co_u32_e32 v3, vcc, s0, v1
	v_addc_co_u32_e32 v4, vcc, v4, v2, vcc
	global_load_dword v3, v[3:4], off
	s_movk_i32 s0, 0xff
	v_lshlrev_b32_e32 v4, 2, v0
	v_cmp_gt_u32_e32 vcc, s0, v0
	s_branch .LBB0_2
.LBB0_1:                                ;   in Loop: Header=BB0_2 Depth=1
	s_or_b64 exec, exec, s[0:1]
	s_add_i32 s4, s4, -1
	s_cmp_lg_u32 s4, 0
	s_waitcnt lgkmcnt(0)
	s_barrier
	s_cbranch_scc0 .LBB0_4
.LBB0_2:                                ; =>This Inner Loop Header: Depth=1
	s_waitcnt vmcnt(0)
	ds_write_b32 v4, v3
	s_waitcnt lgkmcnt(0)
	s_barrier
	s_and_saveexec_b64 s[0:1], vcc
	s_cbranch_execz .LBB0_1
; %bb.3:                                ;   in Loop: Header=BB0_2 Depth=1
	ds_read_b32 v3, v4 offset:4
	s_branch .LBB0_1
.LBB0_4:
	v_mov_b32_e32 v4, s3
	v_add_co_u32_e32 v0, vcc, s2, v1
	v_addc_co_u32_e32 v1, vcc, v4, v2, vcc
	global_store_dword v[0:1], v3, off
	s_endpgm
	.section	.rodata,"a",@progbits
	.p2align	6, 0x0
	.amdhsa_kernel _Z6kernelI6offsetiLj256ELj1ELj100EEvPKT0_PS1_
		.amdhsa_group_segment_fixed_size 1024
		.amdhsa_private_segment_fixed_size 0
		.amdhsa_kernarg_size 16
		.amdhsa_user_sgpr_count 6
		.amdhsa_user_sgpr_private_segment_buffer 1
		.amdhsa_user_sgpr_dispatch_ptr 0
		.amdhsa_user_sgpr_queue_ptr 0
		.amdhsa_user_sgpr_kernarg_segment_ptr 1
		.amdhsa_user_sgpr_dispatch_id 0
		.amdhsa_user_sgpr_flat_scratch_init 0
		.amdhsa_user_sgpr_private_segment_size 0
		.amdhsa_uses_dynamic_stack 0
		.amdhsa_system_sgpr_private_segment_wavefront_offset 0
		.amdhsa_system_sgpr_workgroup_id_x 1
		.amdhsa_system_sgpr_workgroup_id_y 0
		.amdhsa_system_sgpr_workgroup_id_z 0
		.amdhsa_system_sgpr_workgroup_info 0
		.amdhsa_system_vgpr_workitem_id 0
		.amdhsa_next_free_vgpr 5
		.amdhsa_next_free_sgpr 7
		.amdhsa_reserve_vcc 1
		.amdhsa_reserve_flat_scratch 0
		.amdhsa_float_round_mode_32 0
		.amdhsa_float_round_mode_16_64 0
		.amdhsa_float_denorm_mode_32 3
		.amdhsa_float_denorm_mode_16_64 3
		.amdhsa_dx10_clamp 1
		.amdhsa_ieee_mode 1
		.amdhsa_fp16_overflow 0
		.amdhsa_exception_fp_ieee_invalid_op 0
		.amdhsa_exception_fp_denorm_src 0
		.amdhsa_exception_fp_ieee_div_zero 0
		.amdhsa_exception_fp_ieee_overflow 0
		.amdhsa_exception_fp_ieee_underflow 0
		.amdhsa_exception_fp_ieee_inexact 0
		.amdhsa_exception_int_div_zero 0
	.end_amdhsa_kernel
	.section	.text._Z6kernelI6offsetiLj256ELj1ELj100EEvPKT0_PS1_,"axG",@progbits,_Z6kernelI6offsetiLj256ELj1ELj100EEvPKT0_PS1_,comdat
.Lfunc_end0:
	.size	_Z6kernelI6offsetiLj256ELj1ELj100EEvPKT0_PS1_, .Lfunc_end0-_Z6kernelI6offsetiLj256ELj1ELj100EEvPKT0_PS1_
                                        ; -- End function
	.set _Z6kernelI6offsetiLj256ELj1ELj100EEvPKT0_PS1_.num_vgpr, 5
	.set _Z6kernelI6offsetiLj256ELj1ELj100EEvPKT0_PS1_.num_agpr, 0
	.set _Z6kernelI6offsetiLj256ELj1ELj100EEvPKT0_PS1_.numbered_sgpr, 7
	.set _Z6kernelI6offsetiLj256ELj1ELj100EEvPKT0_PS1_.num_named_barrier, 0
	.set _Z6kernelI6offsetiLj256ELj1ELj100EEvPKT0_PS1_.private_seg_size, 0
	.set _Z6kernelI6offsetiLj256ELj1ELj100EEvPKT0_PS1_.uses_vcc, 1
	.set _Z6kernelI6offsetiLj256ELj1ELj100EEvPKT0_PS1_.uses_flat_scratch, 0
	.set _Z6kernelI6offsetiLj256ELj1ELj100EEvPKT0_PS1_.has_dyn_sized_stack, 0
	.set _Z6kernelI6offsetiLj256ELj1ELj100EEvPKT0_PS1_.has_recursion, 0
	.set _Z6kernelI6offsetiLj256ELj1ELj100EEvPKT0_PS1_.has_indirect_call, 0
	.section	.AMDGPU.csdata,"",@progbits
; Kernel info:
; codeLenInByte = 160
; TotalNumSgprs: 11
; NumVgprs: 5
; ScratchSize: 0
; MemoryBound: 0
; FloatMode: 240
; IeeeMode: 1
; LDSByteSize: 1024 bytes/workgroup (compile time only)
; SGPRBlocks: 1
; VGPRBlocks: 1
; NumSGPRsForWavesPerEU: 11
; NumVGPRsForWavesPerEU: 5
; Occupancy: 10
; WaveLimiterHint : 0
; COMPUTE_PGM_RSRC2:SCRATCH_EN: 0
; COMPUTE_PGM_RSRC2:USER_SGPR: 6
; COMPUTE_PGM_RSRC2:TRAP_HANDLER: 0
; COMPUTE_PGM_RSRC2:TGID_X_EN: 1
; COMPUTE_PGM_RSRC2:TGID_Y_EN: 0
; COMPUTE_PGM_RSRC2:TGID_Z_EN: 0
; COMPUTE_PGM_RSRC2:TIDIG_COMP_CNT: 0
	.section	.text._Z6kernelI6offsetfLj256ELj1ELj100EEvPKT0_PS1_,"axG",@progbits,_Z6kernelI6offsetfLj256ELj1ELj100EEvPKT0_PS1_,comdat
	.protected	_Z6kernelI6offsetfLj256ELj1ELj100EEvPKT0_PS1_ ; -- Begin function _Z6kernelI6offsetfLj256ELj1ELj100EEvPKT0_PS1_
	.globl	_Z6kernelI6offsetfLj256ELj1ELj100EEvPKT0_PS1_
	.p2align	8
	.type	_Z6kernelI6offsetfLj256ELj1ELj100EEvPKT0_PS1_,@function
_Z6kernelI6offsetfLj256ELj1ELj100EEvPKT0_PS1_: ; @_Z6kernelI6offsetfLj256ELj1ELj100EEvPKT0_PS1_
; %bb.0:
	s_load_dwordx4 s[0:3], s[4:5], 0x0
	v_lshl_or_b32 v1, s6, 8, v0
	v_mov_b32_e32 v2, 0
	v_lshlrev_b64 v[1:2], 2, v[1:2]
	s_movk_i32 s4, 0x64
	s_waitcnt lgkmcnt(0)
	v_mov_b32_e32 v4, s1
	v_add_co_u32_e32 v3, vcc, s0, v1
	v_addc_co_u32_e32 v4, vcc, v4, v2, vcc
	global_load_dword v3, v[3:4], off
	s_movk_i32 s0, 0xff
	v_lshlrev_b32_e32 v4, 2, v0
	v_cmp_gt_u32_e32 vcc, s0, v0
	s_branch .LBB1_2
.LBB1_1:                                ;   in Loop: Header=BB1_2 Depth=1
	s_or_b64 exec, exec, s[0:1]
	s_add_i32 s4, s4, -1
	s_cmp_lg_u32 s4, 0
	s_waitcnt lgkmcnt(0)
	s_barrier
	s_cbranch_scc0 .LBB1_4
.LBB1_2:                                ; =>This Inner Loop Header: Depth=1
	s_waitcnt vmcnt(0)
	ds_write_b32 v4, v3
	s_waitcnt lgkmcnt(0)
	s_barrier
	s_and_saveexec_b64 s[0:1], vcc
	s_cbranch_execz .LBB1_1
; %bb.3:                                ;   in Loop: Header=BB1_2 Depth=1
	ds_read_b32 v3, v4 offset:4
	s_branch .LBB1_1
.LBB1_4:
	v_mov_b32_e32 v4, s3
	v_add_co_u32_e32 v0, vcc, s2, v1
	v_addc_co_u32_e32 v1, vcc, v4, v2, vcc
	global_store_dword v[0:1], v3, off
	s_endpgm
	.section	.rodata,"a",@progbits
	.p2align	6, 0x0
	.amdhsa_kernel _Z6kernelI6offsetfLj256ELj1ELj100EEvPKT0_PS1_
		.amdhsa_group_segment_fixed_size 1024
		.amdhsa_private_segment_fixed_size 0
		.amdhsa_kernarg_size 16
		.amdhsa_user_sgpr_count 6
		.amdhsa_user_sgpr_private_segment_buffer 1
		.amdhsa_user_sgpr_dispatch_ptr 0
		.amdhsa_user_sgpr_queue_ptr 0
		.amdhsa_user_sgpr_kernarg_segment_ptr 1
		.amdhsa_user_sgpr_dispatch_id 0
		.amdhsa_user_sgpr_flat_scratch_init 0
		.amdhsa_user_sgpr_private_segment_size 0
		.amdhsa_uses_dynamic_stack 0
		.amdhsa_system_sgpr_private_segment_wavefront_offset 0
		.amdhsa_system_sgpr_workgroup_id_x 1
		.amdhsa_system_sgpr_workgroup_id_y 0
		.amdhsa_system_sgpr_workgroup_id_z 0
		.amdhsa_system_sgpr_workgroup_info 0
		.amdhsa_system_vgpr_workitem_id 0
		.amdhsa_next_free_vgpr 5
		.amdhsa_next_free_sgpr 7
		.amdhsa_reserve_vcc 1
		.amdhsa_reserve_flat_scratch 0
		.amdhsa_float_round_mode_32 0
		.amdhsa_float_round_mode_16_64 0
		.amdhsa_float_denorm_mode_32 3
		.amdhsa_float_denorm_mode_16_64 3
		.amdhsa_dx10_clamp 1
		.amdhsa_ieee_mode 1
		.amdhsa_fp16_overflow 0
		.amdhsa_exception_fp_ieee_invalid_op 0
		.amdhsa_exception_fp_denorm_src 0
		.amdhsa_exception_fp_ieee_div_zero 0
		.amdhsa_exception_fp_ieee_overflow 0
		.amdhsa_exception_fp_ieee_underflow 0
		.amdhsa_exception_fp_ieee_inexact 0
		.amdhsa_exception_int_div_zero 0
	.end_amdhsa_kernel
	.section	.text._Z6kernelI6offsetfLj256ELj1ELj100EEvPKT0_PS1_,"axG",@progbits,_Z6kernelI6offsetfLj256ELj1ELj100EEvPKT0_PS1_,comdat
.Lfunc_end1:
	.size	_Z6kernelI6offsetfLj256ELj1ELj100EEvPKT0_PS1_, .Lfunc_end1-_Z6kernelI6offsetfLj256ELj1ELj100EEvPKT0_PS1_
                                        ; -- End function
	.set _Z6kernelI6offsetfLj256ELj1ELj100EEvPKT0_PS1_.num_vgpr, 5
	.set _Z6kernelI6offsetfLj256ELj1ELj100EEvPKT0_PS1_.num_agpr, 0
	.set _Z6kernelI6offsetfLj256ELj1ELj100EEvPKT0_PS1_.numbered_sgpr, 7
	.set _Z6kernelI6offsetfLj256ELj1ELj100EEvPKT0_PS1_.num_named_barrier, 0
	.set _Z6kernelI6offsetfLj256ELj1ELj100EEvPKT0_PS1_.private_seg_size, 0
	.set _Z6kernelI6offsetfLj256ELj1ELj100EEvPKT0_PS1_.uses_vcc, 1
	.set _Z6kernelI6offsetfLj256ELj1ELj100EEvPKT0_PS1_.uses_flat_scratch, 0
	.set _Z6kernelI6offsetfLj256ELj1ELj100EEvPKT0_PS1_.has_dyn_sized_stack, 0
	.set _Z6kernelI6offsetfLj256ELj1ELj100EEvPKT0_PS1_.has_recursion, 0
	.set _Z6kernelI6offsetfLj256ELj1ELj100EEvPKT0_PS1_.has_indirect_call, 0
	.section	.AMDGPU.csdata,"",@progbits
; Kernel info:
; codeLenInByte = 160
; TotalNumSgprs: 11
; NumVgprs: 5
; ScratchSize: 0
; MemoryBound: 0
; FloatMode: 240
; IeeeMode: 1
; LDSByteSize: 1024 bytes/workgroup (compile time only)
; SGPRBlocks: 1
; VGPRBlocks: 1
; NumSGPRsForWavesPerEU: 11
; NumVGPRsForWavesPerEU: 5
; Occupancy: 10
; WaveLimiterHint : 0
; COMPUTE_PGM_RSRC2:SCRATCH_EN: 0
; COMPUTE_PGM_RSRC2:USER_SGPR: 6
; COMPUTE_PGM_RSRC2:TRAP_HANDLER: 0
; COMPUTE_PGM_RSRC2:TGID_X_EN: 1
; COMPUTE_PGM_RSRC2:TGID_Y_EN: 0
; COMPUTE_PGM_RSRC2:TGID_Z_EN: 0
; COMPUTE_PGM_RSRC2:TIDIG_COMP_CNT: 0
	.section	.text._Z6kernelI6offsetdLj256ELj1ELj100EEvPKT0_PS1_,"axG",@progbits,_Z6kernelI6offsetdLj256ELj1ELj100EEvPKT0_PS1_,comdat
	.protected	_Z6kernelI6offsetdLj256ELj1ELj100EEvPKT0_PS1_ ; -- Begin function _Z6kernelI6offsetdLj256ELj1ELj100EEvPKT0_PS1_
	.globl	_Z6kernelI6offsetdLj256ELj1ELj100EEvPKT0_PS1_
	.p2align	8
	.type	_Z6kernelI6offsetdLj256ELj1ELj100EEvPKT0_PS1_,@function
_Z6kernelI6offsetdLj256ELj1ELj100EEvPKT0_PS1_: ; @_Z6kernelI6offsetdLj256ELj1ELj100EEvPKT0_PS1_
; %bb.0:
	s_load_dwordx4 s[0:3], s[4:5], 0x0
	v_lshl_or_b32 v1, s6, 8, v0
	v_mov_b32_e32 v2, 0
	v_lshlrev_b64 v[1:2], 3, v[1:2]
	v_lshlrev_b32_e32 v5, 3, v0
	s_waitcnt lgkmcnt(0)
	v_mov_b32_e32 v4, s1
	v_add_co_u32_e32 v3, vcc, s0, v1
	v_addc_co_u32_e32 v4, vcc, v4, v2, vcc
	global_load_dwordx2 v[3:4], v[3:4], off
	s_movk_i32 s0, 0xff
	v_cmp_gt_u32_e32 vcc, s0, v0
	s_movk_i32 s4, 0x64
	s_branch .LBB2_2
.LBB2_1:                                ;   in Loop: Header=BB2_2 Depth=1
	s_or_b64 exec, exec, s[0:1]
	s_add_i32 s4, s4, -1
	s_cmp_lg_u32 s4, 0
	s_waitcnt lgkmcnt(0)
	s_barrier
	s_cbranch_scc0 .LBB2_4
.LBB2_2:                                ; =>This Inner Loop Header: Depth=1
	s_waitcnt vmcnt(0)
	ds_write_b64 v5, v[3:4]
	s_waitcnt lgkmcnt(0)
	s_barrier
	s_and_saveexec_b64 s[0:1], vcc
	s_cbranch_execz .LBB2_1
; %bb.3:                                ;   in Loop: Header=BB2_2 Depth=1
	ds_read_b64 v[3:4], v5 offset:8
	s_branch .LBB2_1
.LBB2_4:
	v_mov_b32_e32 v5, s3
	v_add_co_u32_e32 v0, vcc, s2, v1
	v_addc_co_u32_e32 v1, vcc, v5, v2, vcc
	global_store_dwordx2 v[0:1], v[3:4], off
	s_endpgm
	.section	.rodata,"a",@progbits
	.p2align	6, 0x0
	.amdhsa_kernel _Z6kernelI6offsetdLj256ELj1ELj100EEvPKT0_PS1_
		.amdhsa_group_segment_fixed_size 2048
		.amdhsa_private_segment_fixed_size 0
		.amdhsa_kernarg_size 16
		.amdhsa_user_sgpr_count 6
		.amdhsa_user_sgpr_private_segment_buffer 1
		.amdhsa_user_sgpr_dispatch_ptr 0
		.amdhsa_user_sgpr_queue_ptr 0
		.amdhsa_user_sgpr_kernarg_segment_ptr 1
		.amdhsa_user_sgpr_dispatch_id 0
		.amdhsa_user_sgpr_flat_scratch_init 0
		.amdhsa_user_sgpr_private_segment_size 0
		.amdhsa_uses_dynamic_stack 0
		.amdhsa_system_sgpr_private_segment_wavefront_offset 0
		.amdhsa_system_sgpr_workgroup_id_x 1
		.amdhsa_system_sgpr_workgroup_id_y 0
		.amdhsa_system_sgpr_workgroup_id_z 0
		.amdhsa_system_sgpr_workgroup_info 0
		.amdhsa_system_vgpr_workitem_id 0
		.amdhsa_next_free_vgpr 6
		.amdhsa_next_free_sgpr 7
		.amdhsa_reserve_vcc 1
		.amdhsa_reserve_flat_scratch 0
		.amdhsa_float_round_mode_32 0
		.amdhsa_float_round_mode_16_64 0
		.amdhsa_float_denorm_mode_32 3
		.amdhsa_float_denorm_mode_16_64 3
		.amdhsa_dx10_clamp 1
		.amdhsa_ieee_mode 1
		.amdhsa_fp16_overflow 0
		.amdhsa_exception_fp_ieee_invalid_op 0
		.amdhsa_exception_fp_denorm_src 0
		.amdhsa_exception_fp_ieee_div_zero 0
		.amdhsa_exception_fp_ieee_overflow 0
		.amdhsa_exception_fp_ieee_underflow 0
		.amdhsa_exception_fp_ieee_inexact 0
		.amdhsa_exception_int_div_zero 0
	.end_amdhsa_kernel
	.section	.text._Z6kernelI6offsetdLj256ELj1ELj100EEvPKT0_PS1_,"axG",@progbits,_Z6kernelI6offsetdLj256ELj1ELj100EEvPKT0_PS1_,comdat
.Lfunc_end2:
	.size	_Z6kernelI6offsetdLj256ELj1ELj100EEvPKT0_PS1_, .Lfunc_end2-_Z6kernelI6offsetdLj256ELj1ELj100EEvPKT0_PS1_
                                        ; -- End function
	.set _Z6kernelI6offsetdLj256ELj1ELj100EEvPKT0_PS1_.num_vgpr, 6
	.set _Z6kernelI6offsetdLj256ELj1ELj100EEvPKT0_PS1_.num_agpr, 0
	.set _Z6kernelI6offsetdLj256ELj1ELj100EEvPKT0_PS1_.numbered_sgpr, 7
	.set _Z6kernelI6offsetdLj256ELj1ELj100EEvPKT0_PS1_.num_named_barrier, 0
	.set _Z6kernelI6offsetdLj256ELj1ELj100EEvPKT0_PS1_.private_seg_size, 0
	.set _Z6kernelI6offsetdLj256ELj1ELj100EEvPKT0_PS1_.uses_vcc, 1
	.set _Z6kernelI6offsetdLj256ELj1ELj100EEvPKT0_PS1_.uses_flat_scratch, 0
	.set _Z6kernelI6offsetdLj256ELj1ELj100EEvPKT0_PS1_.has_dyn_sized_stack, 0
	.set _Z6kernelI6offsetdLj256ELj1ELj100EEvPKT0_PS1_.has_recursion, 0
	.set _Z6kernelI6offsetdLj256ELj1ELj100EEvPKT0_PS1_.has_indirect_call, 0
	.section	.AMDGPU.csdata,"",@progbits
; Kernel info:
; codeLenInByte = 160
; TotalNumSgprs: 11
; NumVgprs: 6
; ScratchSize: 0
; MemoryBound: 0
; FloatMode: 240
; IeeeMode: 1
; LDSByteSize: 2048 bytes/workgroup (compile time only)
; SGPRBlocks: 1
; VGPRBlocks: 1
; NumSGPRsForWavesPerEU: 11
; NumVGPRsForWavesPerEU: 6
; Occupancy: 10
; WaveLimiterHint : 0
; COMPUTE_PGM_RSRC2:SCRATCH_EN: 0
; COMPUTE_PGM_RSRC2:USER_SGPR: 6
; COMPUTE_PGM_RSRC2:TRAP_HANDLER: 0
; COMPUTE_PGM_RSRC2:TGID_X_EN: 1
; COMPUTE_PGM_RSRC2:TGID_Y_EN: 0
; COMPUTE_PGM_RSRC2:TGID_Z_EN: 0
; COMPUTE_PGM_RSRC2:TIDIG_COMP_CNT: 0
	.section	.text._Z6kernelI6offsetaLj256ELj1ELj100EEvPKT0_PS1_,"axG",@progbits,_Z6kernelI6offsetaLj256ELj1ELj100EEvPKT0_PS1_,comdat
	.protected	_Z6kernelI6offsetaLj256ELj1ELj100EEvPKT0_PS1_ ; -- Begin function _Z6kernelI6offsetaLj256ELj1ELj100EEvPKT0_PS1_
	.globl	_Z6kernelI6offsetaLj256ELj1ELj100EEvPKT0_PS1_
	.p2align	8
	.type	_Z6kernelI6offsetaLj256ELj1ELj100EEvPKT0_PS1_,@function
_Z6kernelI6offsetaLj256ELj1ELj100EEvPKT0_PS1_: ; @_Z6kernelI6offsetaLj256ELj1ELj100EEvPKT0_PS1_
; %bb.0:
	s_load_dwordx4 s[0:3], s[4:5], 0x0
	v_lshl_or_b32 v2, s6, 8, v0
	s_movk_i32 s4, 0x64
	s_waitcnt lgkmcnt(0)
	global_load_ubyte v1, v2, s[0:1]
	s_movk_i32 s0, 0xff
	v_cmp_gt_u32_e32 vcc, s0, v0
	s_branch .LBB3_2
.LBB3_1:                                ;   in Loop: Header=BB3_2 Depth=1
	s_or_b64 exec, exec, s[0:1]
	s_add_i32 s4, s4, -1
	s_cmp_lg_u32 s4, 0
	s_waitcnt lgkmcnt(0)
	s_barrier
	s_cbranch_scc0 .LBB3_4
.LBB3_2:                                ; =>This Inner Loop Header: Depth=1
	s_waitcnt vmcnt(0)
	ds_write_b8 v0, v1
	s_waitcnt lgkmcnt(0)
	s_barrier
	s_and_saveexec_b64 s[0:1], vcc
	s_cbranch_execz .LBB3_1
; %bb.3:                                ;   in Loop: Header=BB3_2 Depth=1
	ds_read_u8 v1, v0 offset:1
	s_branch .LBB3_1
.LBB3_4:
	v_mov_b32_e32 v0, s3
	v_add_co_u32_e32 v2, vcc, s2, v2
	v_addc_co_u32_e32 v3, vcc, 0, v0, vcc
	global_store_byte v[2:3], v1, off
	s_endpgm
	.section	.rodata,"a",@progbits
	.p2align	6, 0x0
	.amdhsa_kernel _Z6kernelI6offsetaLj256ELj1ELj100EEvPKT0_PS1_
		.amdhsa_group_segment_fixed_size 256
		.amdhsa_private_segment_fixed_size 0
		.amdhsa_kernarg_size 16
		.amdhsa_user_sgpr_count 6
		.amdhsa_user_sgpr_private_segment_buffer 1
		.amdhsa_user_sgpr_dispatch_ptr 0
		.amdhsa_user_sgpr_queue_ptr 0
		.amdhsa_user_sgpr_kernarg_segment_ptr 1
		.amdhsa_user_sgpr_dispatch_id 0
		.amdhsa_user_sgpr_flat_scratch_init 0
		.amdhsa_user_sgpr_private_segment_size 0
		.amdhsa_uses_dynamic_stack 0
		.amdhsa_system_sgpr_private_segment_wavefront_offset 0
		.amdhsa_system_sgpr_workgroup_id_x 1
		.amdhsa_system_sgpr_workgroup_id_y 0
		.amdhsa_system_sgpr_workgroup_id_z 0
		.amdhsa_system_sgpr_workgroup_info 0
		.amdhsa_system_vgpr_workitem_id 0
		.amdhsa_next_free_vgpr 4
		.amdhsa_next_free_sgpr 7
		.amdhsa_reserve_vcc 1
		.amdhsa_reserve_flat_scratch 0
		.amdhsa_float_round_mode_32 0
		.amdhsa_float_round_mode_16_64 0
		.amdhsa_float_denorm_mode_32 3
		.amdhsa_float_denorm_mode_16_64 3
		.amdhsa_dx10_clamp 1
		.amdhsa_ieee_mode 1
		.amdhsa_fp16_overflow 0
		.amdhsa_exception_fp_ieee_invalid_op 0
		.amdhsa_exception_fp_denorm_src 0
		.amdhsa_exception_fp_ieee_div_zero 0
		.amdhsa_exception_fp_ieee_overflow 0
		.amdhsa_exception_fp_ieee_underflow 0
		.amdhsa_exception_fp_ieee_inexact 0
		.amdhsa_exception_int_div_zero 0
	.end_amdhsa_kernel
	.section	.text._Z6kernelI6offsetaLj256ELj1ELj100EEvPKT0_PS1_,"axG",@progbits,_Z6kernelI6offsetaLj256ELj1ELj100EEvPKT0_PS1_,comdat
.Lfunc_end3:
	.size	_Z6kernelI6offsetaLj256ELj1ELj100EEvPKT0_PS1_, .Lfunc_end3-_Z6kernelI6offsetaLj256ELj1ELj100EEvPKT0_PS1_
                                        ; -- End function
	.set _Z6kernelI6offsetaLj256ELj1ELj100EEvPKT0_PS1_.num_vgpr, 4
	.set _Z6kernelI6offsetaLj256ELj1ELj100EEvPKT0_PS1_.num_agpr, 0
	.set _Z6kernelI6offsetaLj256ELj1ELj100EEvPKT0_PS1_.numbered_sgpr, 7
	.set _Z6kernelI6offsetaLj256ELj1ELj100EEvPKT0_PS1_.num_named_barrier, 0
	.set _Z6kernelI6offsetaLj256ELj1ELj100EEvPKT0_PS1_.private_seg_size, 0
	.set _Z6kernelI6offsetaLj256ELj1ELj100EEvPKT0_PS1_.uses_vcc, 1
	.set _Z6kernelI6offsetaLj256ELj1ELj100EEvPKT0_PS1_.uses_flat_scratch, 0
	.set _Z6kernelI6offsetaLj256ELj1ELj100EEvPKT0_PS1_.has_dyn_sized_stack, 0
	.set _Z6kernelI6offsetaLj256ELj1ELj100EEvPKT0_PS1_.has_recursion, 0
	.set _Z6kernelI6offsetaLj256ELj1ELj100EEvPKT0_PS1_.has_indirect_call, 0
	.section	.AMDGPU.csdata,"",@progbits
; Kernel info:
; codeLenInByte = 132
; TotalNumSgprs: 11
; NumVgprs: 4
; ScratchSize: 0
; MemoryBound: 0
; FloatMode: 240
; IeeeMode: 1
; LDSByteSize: 256 bytes/workgroup (compile time only)
; SGPRBlocks: 1
; VGPRBlocks: 0
; NumSGPRsForWavesPerEU: 11
; NumVGPRsForWavesPerEU: 4
; Occupancy: 10
; WaveLimiterHint : 0
; COMPUTE_PGM_RSRC2:SCRATCH_EN: 0
; COMPUTE_PGM_RSRC2:USER_SGPR: 6
; COMPUTE_PGM_RSRC2:TRAP_HANDLER: 0
; COMPUTE_PGM_RSRC2:TGID_X_EN: 1
; COMPUTE_PGM_RSRC2:TGID_Y_EN: 0
; COMPUTE_PGM_RSRC2:TGID_Z_EN: 0
; COMPUTE_PGM_RSRC2:TIDIG_COMP_CNT: 0
	.section	.text._Z6kernelI6offsetxLj256ELj1ELj100EEvPKT0_PS1_,"axG",@progbits,_Z6kernelI6offsetxLj256ELj1ELj100EEvPKT0_PS1_,comdat
	.protected	_Z6kernelI6offsetxLj256ELj1ELj100EEvPKT0_PS1_ ; -- Begin function _Z6kernelI6offsetxLj256ELj1ELj100EEvPKT0_PS1_
	.globl	_Z6kernelI6offsetxLj256ELj1ELj100EEvPKT0_PS1_
	.p2align	8
	.type	_Z6kernelI6offsetxLj256ELj1ELj100EEvPKT0_PS1_,@function
_Z6kernelI6offsetxLj256ELj1ELj100EEvPKT0_PS1_: ; @_Z6kernelI6offsetxLj256ELj1ELj100EEvPKT0_PS1_
; %bb.0:
	s_load_dwordx4 s[0:3], s[4:5], 0x0
	v_lshl_or_b32 v1, s6, 8, v0
	v_mov_b32_e32 v2, 0
	v_lshlrev_b64 v[1:2], 3, v[1:2]
	v_lshlrev_b32_e32 v5, 3, v0
	s_waitcnt lgkmcnt(0)
	v_mov_b32_e32 v4, s1
	v_add_co_u32_e32 v3, vcc, s0, v1
	v_addc_co_u32_e32 v4, vcc, v4, v2, vcc
	global_load_dwordx2 v[3:4], v[3:4], off
	s_movk_i32 s0, 0xff
	v_cmp_gt_u32_e32 vcc, s0, v0
	s_movk_i32 s4, 0x64
	s_branch .LBB4_2
.LBB4_1:                                ;   in Loop: Header=BB4_2 Depth=1
	s_or_b64 exec, exec, s[0:1]
	s_add_i32 s4, s4, -1
	s_cmp_lg_u32 s4, 0
	s_waitcnt lgkmcnt(0)
	s_barrier
	s_cbranch_scc0 .LBB4_4
.LBB4_2:                                ; =>This Inner Loop Header: Depth=1
	s_waitcnt vmcnt(0)
	ds_write_b64 v5, v[3:4]
	s_waitcnt lgkmcnt(0)
	s_barrier
	s_and_saveexec_b64 s[0:1], vcc
	s_cbranch_execz .LBB4_1
; %bb.3:                                ;   in Loop: Header=BB4_2 Depth=1
	ds_read_b64 v[3:4], v5 offset:8
	s_branch .LBB4_1
.LBB4_4:
	v_mov_b32_e32 v5, s3
	v_add_co_u32_e32 v0, vcc, s2, v1
	v_addc_co_u32_e32 v1, vcc, v5, v2, vcc
	global_store_dwordx2 v[0:1], v[3:4], off
	s_endpgm
	.section	.rodata,"a",@progbits
	.p2align	6, 0x0
	.amdhsa_kernel _Z6kernelI6offsetxLj256ELj1ELj100EEvPKT0_PS1_
		.amdhsa_group_segment_fixed_size 2048
		.amdhsa_private_segment_fixed_size 0
		.amdhsa_kernarg_size 16
		.amdhsa_user_sgpr_count 6
		.amdhsa_user_sgpr_private_segment_buffer 1
		.amdhsa_user_sgpr_dispatch_ptr 0
		.amdhsa_user_sgpr_queue_ptr 0
		.amdhsa_user_sgpr_kernarg_segment_ptr 1
		.amdhsa_user_sgpr_dispatch_id 0
		.amdhsa_user_sgpr_flat_scratch_init 0
		.amdhsa_user_sgpr_private_segment_size 0
		.amdhsa_uses_dynamic_stack 0
		.amdhsa_system_sgpr_private_segment_wavefront_offset 0
		.amdhsa_system_sgpr_workgroup_id_x 1
		.amdhsa_system_sgpr_workgroup_id_y 0
		.amdhsa_system_sgpr_workgroup_id_z 0
		.amdhsa_system_sgpr_workgroup_info 0
		.amdhsa_system_vgpr_workitem_id 0
		.amdhsa_next_free_vgpr 6
		.amdhsa_next_free_sgpr 7
		.amdhsa_reserve_vcc 1
		.amdhsa_reserve_flat_scratch 0
		.amdhsa_float_round_mode_32 0
		.amdhsa_float_round_mode_16_64 0
		.amdhsa_float_denorm_mode_32 3
		.amdhsa_float_denorm_mode_16_64 3
		.amdhsa_dx10_clamp 1
		.amdhsa_ieee_mode 1
		.amdhsa_fp16_overflow 0
		.amdhsa_exception_fp_ieee_invalid_op 0
		.amdhsa_exception_fp_denorm_src 0
		.amdhsa_exception_fp_ieee_div_zero 0
		.amdhsa_exception_fp_ieee_overflow 0
		.amdhsa_exception_fp_ieee_underflow 0
		.amdhsa_exception_fp_ieee_inexact 0
		.amdhsa_exception_int_div_zero 0
	.end_amdhsa_kernel
	.section	.text._Z6kernelI6offsetxLj256ELj1ELj100EEvPKT0_PS1_,"axG",@progbits,_Z6kernelI6offsetxLj256ELj1ELj100EEvPKT0_PS1_,comdat
.Lfunc_end4:
	.size	_Z6kernelI6offsetxLj256ELj1ELj100EEvPKT0_PS1_, .Lfunc_end4-_Z6kernelI6offsetxLj256ELj1ELj100EEvPKT0_PS1_
                                        ; -- End function
	.set _Z6kernelI6offsetxLj256ELj1ELj100EEvPKT0_PS1_.num_vgpr, 6
	.set _Z6kernelI6offsetxLj256ELj1ELj100EEvPKT0_PS1_.num_agpr, 0
	.set _Z6kernelI6offsetxLj256ELj1ELj100EEvPKT0_PS1_.numbered_sgpr, 7
	.set _Z6kernelI6offsetxLj256ELj1ELj100EEvPKT0_PS1_.num_named_barrier, 0
	.set _Z6kernelI6offsetxLj256ELj1ELj100EEvPKT0_PS1_.private_seg_size, 0
	.set _Z6kernelI6offsetxLj256ELj1ELj100EEvPKT0_PS1_.uses_vcc, 1
	.set _Z6kernelI6offsetxLj256ELj1ELj100EEvPKT0_PS1_.uses_flat_scratch, 0
	.set _Z6kernelI6offsetxLj256ELj1ELj100EEvPKT0_PS1_.has_dyn_sized_stack, 0
	.set _Z6kernelI6offsetxLj256ELj1ELj100EEvPKT0_PS1_.has_recursion, 0
	.set _Z6kernelI6offsetxLj256ELj1ELj100EEvPKT0_PS1_.has_indirect_call, 0
	.section	.AMDGPU.csdata,"",@progbits
; Kernel info:
; codeLenInByte = 160
; TotalNumSgprs: 11
; NumVgprs: 6
; ScratchSize: 0
; MemoryBound: 0
; FloatMode: 240
; IeeeMode: 1
; LDSByteSize: 2048 bytes/workgroup (compile time only)
; SGPRBlocks: 1
; VGPRBlocks: 1
; NumSGPRsForWavesPerEU: 11
; NumVGPRsForWavesPerEU: 6
; Occupancy: 10
; WaveLimiterHint : 0
; COMPUTE_PGM_RSRC2:SCRATCH_EN: 0
; COMPUTE_PGM_RSRC2:USER_SGPR: 6
; COMPUTE_PGM_RSRC2:TRAP_HANDLER: 0
; COMPUTE_PGM_RSRC2:TGID_X_EN: 1
; COMPUTE_PGM_RSRC2:TGID_Y_EN: 0
; COMPUTE_PGM_RSRC2:TGID_Z_EN: 0
; COMPUTE_PGM_RSRC2:TIDIG_COMP_CNT: 0
	.section	.text._Z6kernelI6offsetN15benchmark_utils11custom_typeIffEELj256ELj1ELj100EEvPKT0_PS4_,"axG",@progbits,_Z6kernelI6offsetN15benchmark_utils11custom_typeIffEELj256ELj1ELj100EEvPKT0_PS4_,comdat
	.protected	_Z6kernelI6offsetN15benchmark_utils11custom_typeIffEELj256ELj1ELj100EEvPKT0_PS4_ ; -- Begin function _Z6kernelI6offsetN15benchmark_utils11custom_typeIffEELj256ELj1ELj100EEvPKT0_PS4_
	.globl	_Z6kernelI6offsetN15benchmark_utils11custom_typeIffEELj256ELj1ELj100EEvPKT0_PS4_
	.p2align	8
	.type	_Z6kernelI6offsetN15benchmark_utils11custom_typeIffEELj256ELj1ELj100EEvPKT0_PS4_,@function
_Z6kernelI6offsetN15benchmark_utils11custom_typeIffEELj256ELj1ELj100EEvPKT0_PS4_: ; @_Z6kernelI6offsetN15benchmark_utils11custom_typeIffEELj256ELj1ELj100EEvPKT0_PS4_
; %bb.0:
	s_load_dwordx4 s[0:3], s[4:5], 0x0
	v_lshl_or_b32 v1, s6, 8, v0
	v_mov_b32_e32 v2, 0
	v_lshlrev_b64 v[1:2], 3, v[1:2]
	v_lshlrev_b32_e32 v5, 3, v0
	s_waitcnt lgkmcnt(0)
	v_mov_b32_e32 v4, s1
	v_add_co_u32_e32 v3, vcc, s0, v1
	v_addc_co_u32_e32 v4, vcc, v4, v2, vcc
	global_load_dwordx2 v[3:4], v[3:4], off
	s_movk_i32 s0, 0xff
	v_cmp_gt_u32_e32 vcc, s0, v0
	s_movk_i32 s4, 0x64
	s_branch .LBB5_2
.LBB5_1:                                ;   in Loop: Header=BB5_2 Depth=1
	s_or_b64 exec, exec, s[0:1]
	s_add_i32 s4, s4, -1
	s_cmp_lg_u32 s4, 0
	s_waitcnt lgkmcnt(0)
	s_barrier
	s_cbranch_scc0 .LBB5_4
.LBB5_2:                                ; =>This Inner Loop Header: Depth=1
	s_waitcnt vmcnt(0)
	ds_write2_b32 v5, v3, v4 offset1:1
	s_waitcnt lgkmcnt(0)
	s_barrier
	s_and_saveexec_b64 s[0:1], vcc
	s_cbranch_execz .LBB5_1
; %bb.3:                                ;   in Loop: Header=BB5_2 Depth=1
	ds_read2_b32 v[3:4], v5 offset0:2 offset1:3
	s_branch .LBB5_1
.LBB5_4:
	v_mov_b32_e32 v5, s3
	v_add_co_u32_e32 v0, vcc, s2, v1
	v_addc_co_u32_e32 v1, vcc, v5, v2, vcc
	global_store_dwordx2 v[0:1], v[3:4], off
	s_endpgm
	.section	.rodata,"a",@progbits
	.p2align	6, 0x0
	.amdhsa_kernel _Z6kernelI6offsetN15benchmark_utils11custom_typeIffEELj256ELj1ELj100EEvPKT0_PS4_
		.amdhsa_group_segment_fixed_size 2048
		.amdhsa_private_segment_fixed_size 0
		.amdhsa_kernarg_size 16
		.amdhsa_user_sgpr_count 6
		.amdhsa_user_sgpr_private_segment_buffer 1
		.amdhsa_user_sgpr_dispatch_ptr 0
		.amdhsa_user_sgpr_queue_ptr 0
		.amdhsa_user_sgpr_kernarg_segment_ptr 1
		.amdhsa_user_sgpr_dispatch_id 0
		.amdhsa_user_sgpr_flat_scratch_init 0
		.amdhsa_user_sgpr_private_segment_size 0
		.amdhsa_uses_dynamic_stack 0
		.amdhsa_system_sgpr_private_segment_wavefront_offset 0
		.amdhsa_system_sgpr_workgroup_id_x 1
		.amdhsa_system_sgpr_workgroup_id_y 0
		.amdhsa_system_sgpr_workgroup_id_z 0
		.amdhsa_system_sgpr_workgroup_info 0
		.amdhsa_system_vgpr_workitem_id 0
		.amdhsa_next_free_vgpr 6
		.amdhsa_next_free_sgpr 7
		.amdhsa_reserve_vcc 1
		.amdhsa_reserve_flat_scratch 0
		.amdhsa_float_round_mode_32 0
		.amdhsa_float_round_mode_16_64 0
		.amdhsa_float_denorm_mode_32 3
		.amdhsa_float_denorm_mode_16_64 3
		.amdhsa_dx10_clamp 1
		.amdhsa_ieee_mode 1
		.amdhsa_fp16_overflow 0
		.amdhsa_exception_fp_ieee_invalid_op 0
		.amdhsa_exception_fp_denorm_src 0
		.amdhsa_exception_fp_ieee_div_zero 0
		.amdhsa_exception_fp_ieee_overflow 0
		.amdhsa_exception_fp_ieee_underflow 0
		.amdhsa_exception_fp_ieee_inexact 0
		.amdhsa_exception_int_div_zero 0
	.end_amdhsa_kernel
	.section	.text._Z6kernelI6offsetN15benchmark_utils11custom_typeIffEELj256ELj1ELj100EEvPKT0_PS4_,"axG",@progbits,_Z6kernelI6offsetN15benchmark_utils11custom_typeIffEELj256ELj1ELj100EEvPKT0_PS4_,comdat
.Lfunc_end5:
	.size	_Z6kernelI6offsetN15benchmark_utils11custom_typeIffEELj256ELj1ELj100EEvPKT0_PS4_, .Lfunc_end5-_Z6kernelI6offsetN15benchmark_utils11custom_typeIffEELj256ELj1ELj100EEvPKT0_PS4_
                                        ; -- End function
	.set _Z6kernelI6offsetN15benchmark_utils11custom_typeIffEELj256ELj1ELj100EEvPKT0_PS4_.num_vgpr, 6
	.set _Z6kernelI6offsetN15benchmark_utils11custom_typeIffEELj256ELj1ELj100EEvPKT0_PS4_.num_agpr, 0
	.set _Z6kernelI6offsetN15benchmark_utils11custom_typeIffEELj256ELj1ELj100EEvPKT0_PS4_.numbered_sgpr, 7
	.set _Z6kernelI6offsetN15benchmark_utils11custom_typeIffEELj256ELj1ELj100EEvPKT0_PS4_.num_named_barrier, 0
	.set _Z6kernelI6offsetN15benchmark_utils11custom_typeIffEELj256ELj1ELj100EEvPKT0_PS4_.private_seg_size, 0
	.set _Z6kernelI6offsetN15benchmark_utils11custom_typeIffEELj256ELj1ELj100EEvPKT0_PS4_.uses_vcc, 1
	.set _Z6kernelI6offsetN15benchmark_utils11custom_typeIffEELj256ELj1ELj100EEvPKT0_PS4_.uses_flat_scratch, 0
	.set _Z6kernelI6offsetN15benchmark_utils11custom_typeIffEELj256ELj1ELj100EEvPKT0_PS4_.has_dyn_sized_stack, 0
	.set _Z6kernelI6offsetN15benchmark_utils11custom_typeIffEELj256ELj1ELj100EEvPKT0_PS4_.has_recursion, 0
	.set _Z6kernelI6offsetN15benchmark_utils11custom_typeIffEELj256ELj1ELj100EEvPKT0_PS4_.has_indirect_call, 0
	.section	.AMDGPU.csdata,"",@progbits
; Kernel info:
; codeLenInByte = 160
; TotalNumSgprs: 11
; NumVgprs: 6
; ScratchSize: 0
; MemoryBound: 0
; FloatMode: 240
; IeeeMode: 1
; LDSByteSize: 2048 bytes/workgroup (compile time only)
; SGPRBlocks: 1
; VGPRBlocks: 1
; NumSGPRsForWavesPerEU: 11
; NumVGPRsForWavesPerEU: 6
; Occupancy: 10
; WaveLimiterHint : 0
; COMPUTE_PGM_RSRC2:SCRATCH_EN: 0
; COMPUTE_PGM_RSRC2:USER_SGPR: 6
; COMPUTE_PGM_RSRC2:TRAP_HANDLER: 0
; COMPUTE_PGM_RSRC2:TGID_X_EN: 1
; COMPUTE_PGM_RSRC2:TGID_Y_EN: 0
; COMPUTE_PGM_RSRC2:TGID_Z_EN: 0
; COMPUTE_PGM_RSRC2:TIDIG_COMP_CNT: 0
	.section	.text._Z6kernelI6offsetN15benchmark_utils11custom_typeIddEELj256ELj1ELj100EEvPKT0_PS4_,"axG",@progbits,_Z6kernelI6offsetN15benchmark_utils11custom_typeIddEELj256ELj1ELj100EEvPKT0_PS4_,comdat
	.protected	_Z6kernelI6offsetN15benchmark_utils11custom_typeIddEELj256ELj1ELj100EEvPKT0_PS4_ ; -- Begin function _Z6kernelI6offsetN15benchmark_utils11custom_typeIddEELj256ELj1ELj100EEvPKT0_PS4_
	.globl	_Z6kernelI6offsetN15benchmark_utils11custom_typeIddEELj256ELj1ELj100EEvPKT0_PS4_
	.p2align	8
	.type	_Z6kernelI6offsetN15benchmark_utils11custom_typeIddEELj256ELj1ELj100EEvPKT0_PS4_,@function
_Z6kernelI6offsetN15benchmark_utils11custom_typeIddEELj256ELj1ELj100EEvPKT0_PS4_: ; @_Z6kernelI6offsetN15benchmark_utils11custom_typeIddEELj256ELj1ELj100EEvPKT0_PS4_
; %bb.0:
	s_load_dwordx4 s[0:3], s[4:5], 0x0
	v_lshl_or_b32 v1, s6, 8, v0
	v_mov_b32_e32 v2, 0
	v_lshlrev_b64 v[5:6], 4, v[1:2]
	v_lshlrev_b32_e32 v7, 4, v0
	s_waitcnt lgkmcnt(0)
	v_mov_b32_e32 v2, s1
	v_add_co_u32_e32 v1, vcc, s0, v5
	v_addc_co_u32_e32 v2, vcc, v2, v6, vcc
	global_load_dwordx4 v[1:4], v[1:2], off
	s_movk_i32 s0, 0xff
	v_cmp_gt_u32_e32 vcc, s0, v0
	s_movk_i32 s4, 0x64
	s_branch .LBB6_2
.LBB6_1:                                ;   in Loop: Header=BB6_2 Depth=1
	s_or_b64 exec, exec, s[0:1]
	s_add_i32 s4, s4, -1
	s_cmp_lg_u32 s4, 0
	s_waitcnt lgkmcnt(0)
	s_barrier
	s_cbranch_scc0 .LBB6_4
.LBB6_2:                                ; =>This Inner Loop Header: Depth=1
	s_waitcnt vmcnt(0)
	ds_write2_b64 v7, v[1:2], v[3:4] offset1:1
	s_waitcnt lgkmcnt(0)
	s_barrier
	s_and_saveexec_b64 s[0:1], vcc
	s_cbranch_execz .LBB6_1
; %bb.3:                                ;   in Loop: Header=BB6_2 Depth=1
	ds_read2_b64 v[1:4], v7 offset0:2 offset1:3
	s_branch .LBB6_1
.LBB6_4:
	v_mov_b32_e32 v0, s3
	v_add_co_u32_e32 v5, vcc, s2, v5
	v_addc_co_u32_e32 v6, vcc, v0, v6, vcc
	global_store_dwordx4 v[5:6], v[1:4], off
	s_endpgm
	.section	.rodata,"a",@progbits
	.p2align	6, 0x0
	.amdhsa_kernel _Z6kernelI6offsetN15benchmark_utils11custom_typeIddEELj256ELj1ELj100EEvPKT0_PS4_
		.amdhsa_group_segment_fixed_size 4096
		.amdhsa_private_segment_fixed_size 0
		.amdhsa_kernarg_size 16
		.amdhsa_user_sgpr_count 6
		.amdhsa_user_sgpr_private_segment_buffer 1
		.amdhsa_user_sgpr_dispatch_ptr 0
		.amdhsa_user_sgpr_queue_ptr 0
		.amdhsa_user_sgpr_kernarg_segment_ptr 1
		.amdhsa_user_sgpr_dispatch_id 0
		.amdhsa_user_sgpr_flat_scratch_init 0
		.amdhsa_user_sgpr_private_segment_size 0
		.amdhsa_uses_dynamic_stack 0
		.amdhsa_system_sgpr_private_segment_wavefront_offset 0
		.amdhsa_system_sgpr_workgroup_id_x 1
		.amdhsa_system_sgpr_workgroup_id_y 0
		.amdhsa_system_sgpr_workgroup_id_z 0
		.amdhsa_system_sgpr_workgroup_info 0
		.amdhsa_system_vgpr_workitem_id 0
		.amdhsa_next_free_vgpr 8
		.amdhsa_next_free_sgpr 7
		.amdhsa_reserve_vcc 1
		.amdhsa_reserve_flat_scratch 0
		.amdhsa_float_round_mode_32 0
		.amdhsa_float_round_mode_16_64 0
		.amdhsa_float_denorm_mode_32 3
		.amdhsa_float_denorm_mode_16_64 3
		.amdhsa_dx10_clamp 1
		.amdhsa_ieee_mode 1
		.amdhsa_fp16_overflow 0
		.amdhsa_exception_fp_ieee_invalid_op 0
		.amdhsa_exception_fp_denorm_src 0
		.amdhsa_exception_fp_ieee_div_zero 0
		.amdhsa_exception_fp_ieee_overflow 0
		.amdhsa_exception_fp_ieee_underflow 0
		.amdhsa_exception_fp_ieee_inexact 0
		.amdhsa_exception_int_div_zero 0
	.end_amdhsa_kernel
	.section	.text._Z6kernelI6offsetN15benchmark_utils11custom_typeIddEELj256ELj1ELj100EEvPKT0_PS4_,"axG",@progbits,_Z6kernelI6offsetN15benchmark_utils11custom_typeIddEELj256ELj1ELj100EEvPKT0_PS4_,comdat
.Lfunc_end6:
	.size	_Z6kernelI6offsetN15benchmark_utils11custom_typeIddEELj256ELj1ELj100EEvPKT0_PS4_, .Lfunc_end6-_Z6kernelI6offsetN15benchmark_utils11custom_typeIddEELj256ELj1ELj100EEvPKT0_PS4_
                                        ; -- End function
	.set _Z6kernelI6offsetN15benchmark_utils11custom_typeIddEELj256ELj1ELj100EEvPKT0_PS4_.num_vgpr, 8
	.set _Z6kernelI6offsetN15benchmark_utils11custom_typeIddEELj256ELj1ELj100EEvPKT0_PS4_.num_agpr, 0
	.set _Z6kernelI6offsetN15benchmark_utils11custom_typeIddEELj256ELj1ELj100EEvPKT0_PS4_.numbered_sgpr, 7
	.set _Z6kernelI6offsetN15benchmark_utils11custom_typeIddEELj256ELj1ELj100EEvPKT0_PS4_.num_named_barrier, 0
	.set _Z6kernelI6offsetN15benchmark_utils11custom_typeIddEELj256ELj1ELj100EEvPKT0_PS4_.private_seg_size, 0
	.set _Z6kernelI6offsetN15benchmark_utils11custom_typeIddEELj256ELj1ELj100EEvPKT0_PS4_.uses_vcc, 1
	.set _Z6kernelI6offsetN15benchmark_utils11custom_typeIddEELj256ELj1ELj100EEvPKT0_PS4_.uses_flat_scratch, 0
	.set _Z6kernelI6offsetN15benchmark_utils11custom_typeIddEELj256ELj1ELj100EEvPKT0_PS4_.has_dyn_sized_stack, 0
	.set _Z6kernelI6offsetN15benchmark_utils11custom_typeIddEELj256ELj1ELj100EEvPKT0_PS4_.has_recursion, 0
	.set _Z6kernelI6offsetN15benchmark_utils11custom_typeIddEELj256ELj1ELj100EEvPKT0_PS4_.has_indirect_call, 0
	.section	.AMDGPU.csdata,"",@progbits
; Kernel info:
; codeLenInByte = 160
; TotalNumSgprs: 11
; NumVgprs: 8
; ScratchSize: 0
; MemoryBound: 0
; FloatMode: 240
; IeeeMode: 1
; LDSByteSize: 4096 bytes/workgroup (compile time only)
; SGPRBlocks: 1
; VGPRBlocks: 1
; NumSGPRsForWavesPerEU: 11
; NumVGPRsForWavesPerEU: 8
; Occupancy: 10
; WaveLimiterHint : 0
; COMPUTE_PGM_RSRC2:SCRATCH_EN: 0
; COMPUTE_PGM_RSRC2:USER_SGPR: 6
; COMPUTE_PGM_RSRC2:TRAP_HANDLER: 0
; COMPUTE_PGM_RSRC2:TGID_X_EN: 1
; COMPUTE_PGM_RSRC2:TGID_Y_EN: 0
; COMPUTE_PGM_RSRC2:TGID_Z_EN: 0
; COMPUTE_PGM_RSRC2:TIDIG_COMP_CNT: 0
	.section	.text._Z6kernelI6rotateiLj256ELj1ELj100EEvPKT0_PS1_,"axG",@progbits,_Z6kernelI6rotateiLj256ELj1ELj100EEvPKT0_PS1_,comdat
	.protected	_Z6kernelI6rotateiLj256ELj1ELj100EEvPKT0_PS1_ ; -- Begin function _Z6kernelI6rotateiLj256ELj1ELj100EEvPKT0_PS1_
	.globl	_Z6kernelI6rotateiLj256ELj1ELj100EEvPKT0_PS1_
	.p2align	8
	.type	_Z6kernelI6rotateiLj256ELj1ELj100EEvPKT0_PS1_,@function
_Z6kernelI6rotateiLj256ELj1ELj100EEvPKT0_PS1_: ; @_Z6kernelI6rotateiLj256ELj1ELj100EEvPKT0_PS1_
; %bb.0:
	s_load_dwordx4 s[0:3], s[4:5], 0x0
	v_lshl_or_b32 v1, s6, 8, v0
	v_mov_b32_e32 v2, 0
	v_lshlrev_b64 v[1:2], 2, v[1:2]
	v_mov_b32_e32 v5, 0xffffff01
	s_waitcnt lgkmcnt(0)
	v_mov_b32_e32 v4, s1
	v_add_co_u32_e32 v3, vcc, s0, v1
	v_addc_co_u32_e32 v4, vcc, v4, v2, vcc
	global_load_dword v3, v[3:4], off
	s_movk_i32 s0, 0xfe
	v_cmp_lt_u32_e32 vcc, s0, v0
	v_cndmask_b32_e32 v5, 1, v5, vcc
	v_lshlrev_b32_e32 v4, 2, v0
	v_add_lshl_u32 v0, v5, v0, 2
	s_movk_i32 s0, 0x64
.LBB7_1:                                ; =>This Inner Loop Header: Depth=1
	s_waitcnt vmcnt(0)
	ds_write_b32 v4, v3
	s_waitcnt lgkmcnt(0)
	s_barrier
	ds_read_b32 v3, v0
	s_add_i32 s0, s0, -1
	s_cmp_lg_u32 s0, 0
	s_waitcnt lgkmcnt(0)
	s_barrier
	s_cbranch_scc1 .LBB7_1
; %bb.2:
	v_mov_b32_e32 v4, s3
	v_add_co_u32_e32 v0, vcc, s2, v1
	v_addc_co_u32_e32 v1, vcc, v4, v2, vcc
	global_store_dword v[0:1], v3, off
	s_endpgm
	.section	.rodata,"a",@progbits
	.p2align	6, 0x0
	.amdhsa_kernel _Z6kernelI6rotateiLj256ELj1ELj100EEvPKT0_PS1_
		.amdhsa_group_segment_fixed_size 1024
		.amdhsa_private_segment_fixed_size 0
		.amdhsa_kernarg_size 16
		.amdhsa_user_sgpr_count 6
		.amdhsa_user_sgpr_private_segment_buffer 1
		.amdhsa_user_sgpr_dispatch_ptr 0
		.amdhsa_user_sgpr_queue_ptr 0
		.amdhsa_user_sgpr_kernarg_segment_ptr 1
		.amdhsa_user_sgpr_dispatch_id 0
		.amdhsa_user_sgpr_flat_scratch_init 0
		.amdhsa_user_sgpr_private_segment_size 0
		.amdhsa_uses_dynamic_stack 0
		.amdhsa_system_sgpr_private_segment_wavefront_offset 0
		.amdhsa_system_sgpr_workgroup_id_x 1
		.amdhsa_system_sgpr_workgroup_id_y 0
		.amdhsa_system_sgpr_workgroup_id_z 0
		.amdhsa_system_sgpr_workgroup_info 0
		.amdhsa_system_vgpr_workitem_id 0
		.amdhsa_next_free_vgpr 6
		.amdhsa_next_free_sgpr 7
		.amdhsa_reserve_vcc 1
		.amdhsa_reserve_flat_scratch 0
		.amdhsa_float_round_mode_32 0
		.amdhsa_float_round_mode_16_64 0
		.amdhsa_float_denorm_mode_32 3
		.amdhsa_float_denorm_mode_16_64 3
		.amdhsa_dx10_clamp 1
		.amdhsa_ieee_mode 1
		.amdhsa_fp16_overflow 0
		.amdhsa_exception_fp_ieee_invalid_op 0
		.amdhsa_exception_fp_denorm_src 0
		.amdhsa_exception_fp_ieee_div_zero 0
		.amdhsa_exception_fp_ieee_overflow 0
		.amdhsa_exception_fp_ieee_underflow 0
		.amdhsa_exception_fp_ieee_inexact 0
		.amdhsa_exception_int_div_zero 0
	.end_amdhsa_kernel
	.section	.text._Z6kernelI6rotateiLj256ELj1ELj100EEvPKT0_PS1_,"axG",@progbits,_Z6kernelI6rotateiLj256ELj1ELj100EEvPKT0_PS1_,comdat
.Lfunc_end7:
	.size	_Z6kernelI6rotateiLj256ELj1ELj100EEvPKT0_PS1_, .Lfunc_end7-_Z6kernelI6rotateiLj256ELj1ELj100EEvPKT0_PS1_
                                        ; -- End function
	.set _Z6kernelI6rotateiLj256ELj1ELj100EEvPKT0_PS1_.num_vgpr, 6
	.set _Z6kernelI6rotateiLj256ELj1ELj100EEvPKT0_PS1_.num_agpr, 0
	.set _Z6kernelI6rotateiLj256ELj1ELj100EEvPKT0_PS1_.numbered_sgpr, 7
	.set _Z6kernelI6rotateiLj256ELj1ELj100EEvPKT0_PS1_.num_named_barrier, 0
	.set _Z6kernelI6rotateiLj256ELj1ELj100EEvPKT0_PS1_.private_seg_size, 0
	.set _Z6kernelI6rotateiLj256ELj1ELj100EEvPKT0_PS1_.uses_vcc, 1
	.set _Z6kernelI6rotateiLj256ELj1ELj100EEvPKT0_PS1_.uses_flat_scratch, 0
	.set _Z6kernelI6rotateiLj256ELj1ELj100EEvPKT0_PS1_.has_dyn_sized_stack, 0
	.set _Z6kernelI6rotateiLj256ELj1ELj100EEvPKT0_PS1_.has_recursion, 0
	.set _Z6kernelI6rotateiLj256ELj1ELj100EEvPKT0_PS1_.has_indirect_call, 0
	.section	.AMDGPU.csdata,"",@progbits
; Kernel info:
; codeLenInByte = 160
; TotalNumSgprs: 11
; NumVgprs: 6
; ScratchSize: 0
; MemoryBound: 0
; FloatMode: 240
; IeeeMode: 1
; LDSByteSize: 1024 bytes/workgroup (compile time only)
; SGPRBlocks: 1
; VGPRBlocks: 1
; NumSGPRsForWavesPerEU: 11
; NumVGPRsForWavesPerEU: 6
; Occupancy: 10
; WaveLimiterHint : 0
; COMPUTE_PGM_RSRC2:SCRATCH_EN: 0
; COMPUTE_PGM_RSRC2:USER_SGPR: 6
; COMPUTE_PGM_RSRC2:TRAP_HANDLER: 0
; COMPUTE_PGM_RSRC2:TGID_X_EN: 1
; COMPUTE_PGM_RSRC2:TGID_Y_EN: 0
; COMPUTE_PGM_RSRC2:TGID_Z_EN: 0
; COMPUTE_PGM_RSRC2:TIDIG_COMP_CNT: 0
	.section	.text._Z6kernelI6rotatefLj256ELj1ELj100EEvPKT0_PS1_,"axG",@progbits,_Z6kernelI6rotatefLj256ELj1ELj100EEvPKT0_PS1_,comdat
	.protected	_Z6kernelI6rotatefLj256ELj1ELj100EEvPKT0_PS1_ ; -- Begin function _Z6kernelI6rotatefLj256ELj1ELj100EEvPKT0_PS1_
	.globl	_Z6kernelI6rotatefLj256ELj1ELj100EEvPKT0_PS1_
	.p2align	8
	.type	_Z6kernelI6rotatefLj256ELj1ELj100EEvPKT0_PS1_,@function
_Z6kernelI6rotatefLj256ELj1ELj100EEvPKT0_PS1_: ; @_Z6kernelI6rotatefLj256ELj1ELj100EEvPKT0_PS1_
; %bb.0:
	s_load_dwordx4 s[0:3], s[4:5], 0x0
	v_lshl_or_b32 v1, s6, 8, v0
	v_mov_b32_e32 v2, 0
	v_lshlrev_b64 v[1:2], 2, v[1:2]
	v_mov_b32_e32 v5, 0xffffff01
	s_waitcnt lgkmcnt(0)
	v_mov_b32_e32 v4, s1
	v_add_co_u32_e32 v3, vcc, s0, v1
	v_addc_co_u32_e32 v4, vcc, v4, v2, vcc
	global_load_dword v3, v[3:4], off
	s_movk_i32 s0, 0xfe
	v_cmp_lt_u32_e32 vcc, s0, v0
	v_cndmask_b32_e32 v5, 1, v5, vcc
	v_lshlrev_b32_e32 v4, 2, v0
	v_add_lshl_u32 v0, v5, v0, 2
	s_movk_i32 s0, 0x64
.LBB8_1:                                ; =>This Inner Loop Header: Depth=1
	s_waitcnt vmcnt(0)
	ds_write_b32 v4, v3
	s_waitcnt lgkmcnt(0)
	s_barrier
	ds_read_b32 v3, v0
	s_add_i32 s0, s0, -1
	s_cmp_lg_u32 s0, 0
	s_waitcnt lgkmcnt(0)
	s_barrier
	s_cbranch_scc1 .LBB8_1
; %bb.2:
	v_mov_b32_e32 v4, s3
	v_add_co_u32_e32 v0, vcc, s2, v1
	v_addc_co_u32_e32 v1, vcc, v4, v2, vcc
	global_store_dword v[0:1], v3, off
	s_endpgm
	.section	.rodata,"a",@progbits
	.p2align	6, 0x0
	.amdhsa_kernel _Z6kernelI6rotatefLj256ELj1ELj100EEvPKT0_PS1_
		.amdhsa_group_segment_fixed_size 1024
		.amdhsa_private_segment_fixed_size 0
		.amdhsa_kernarg_size 16
		.amdhsa_user_sgpr_count 6
		.amdhsa_user_sgpr_private_segment_buffer 1
		.amdhsa_user_sgpr_dispatch_ptr 0
		.amdhsa_user_sgpr_queue_ptr 0
		.amdhsa_user_sgpr_kernarg_segment_ptr 1
		.amdhsa_user_sgpr_dispatch_id 0
		.amdhsa_user_sgpr_flat_scratch_init 0
		.amdhsa_user_sgpr_private_segment_size 0
		.amdhsa_uses_dynamic_stack 0
		.amdhsa_system_sgpr_private_segment_wavefront_offset 0
		.amdhsa_system_sgpr_workgroup_id_x 1
		.amdhsa_system_sgpr_workgroup_id_y 0
		.amdhsa_system_sgpr_workgroup_id_z 0
		.amdhsa_system_sgpr_workgroup_info 0
		.amdhsa_system_vgpr_workitem_id 0
		.amdhsa_next_free_vgpr 6
		.amdhsa_next_free_sgpr 7
		.amdhsa_reserve_vcc 1
		.amdhsa_reserve_flat_scratch 0
		.amdhsa_float_round_mode_32 0
		.amdhsa_float_round_mode_16_64 0
		.amdhsa_float_denorm_mode_32 3
		.amdhsa_float_denorm_mode_16_64 3
		.amdhsa_dx10_clamp 1
		.amdhsa_ieee_mode 1
		.amdhsa_fp16_overflow 0
		.amdhsa_exception_fp_ieee_invalid_op 0
		.amdhsa_exception_fp_denorm_src 0
		.amdhsa_exception_fp_ieee_div_zero 0
		.amdhsa_exception_fp_ieee_overflow 0
		.amdhsa_exception_fp_ieee_underflow 0
		.amdhsa_exception_fp_ieee_inexact 0
		.amdhsa_exception_int_div_zero 0
	.end_amdhsa_kernel
	.section	.text._Z6kernelI6rotatefLj256ELj1ELj100EEvPKT0_PS1_,"axG",@progbits,_Z6kernelI6rotatefLj256ELj1ELj100EEvPKT0_PS1_,comdat
.Lfunc_end8:
	.size	_Z6kernelI6rotatefLj256ELj1ELj100EEvPKT0_PS1_, .Lfunc_end8-_Z6kernelI6rotatefLj256ELj1ELj100EEvPKT0_PS1_
                                        ; -- End function
	.set _Z6kernelI6rotatefLj256ELj1ELj100EEvPKT0_PS1_.num_vgpr, 6
	.set _Z6kernelI6rotatefLj256ELj1ELj100EEvPKT0_PS1_.num_agpr, 0
	.set _Z6kernelI6rotatefLj256ELj1ELj100EEvPKT0_PS1_.numbered_sgpr, 7
	.set _Z6kernelI6rotatefLj256ELj1ELj100EEvPKT0_PS1_.num_named_barrier, 0
	.set _Z6kernelI6rotatefLj256ELj1ELj100EEvPKT0_PS1_.private_seg_size, 0
	.set _Z6kernelI6rotatefLj256ELj1ELj100EEvPKT0_PS1_.uses_vcc, 1
	.set _Z6kernelI6rotatefLj256ELj1ELj100EEvPKT0_PS1_.uses_flat_scratch, 0
	.set _Z6kernelI6rotatefLj256ELj1ELj100EEvPKT0_PS1_.has_dyn_sized_stack, 0
	.set _Z6kernelI6rotatefLj256ELj1ELj100EEvPKT0_PS1_.has_recursion, 0
	.set _Z6kernelI6rotatefLj256ELj1ELj100EEvPKT0_PS1_.has_indirect_call, 0
	.section	.AMDGPU.csdata,"",@progbits
; Kernel info:
; codeLenInByte = 160
; TotalNumSgprs: 11
; NumVgprs: 6
; ScratchSize: 0
; MemoryBound: 0
; FloatMode: 240
; IeeeMode: 1
; LDSByteSize: 1024 bytes/workgroup (compile time only)
; SGPRBlocks: 1
; VGPRBlocks: 1
; NumSGPRsForWavesPerEU: 11
; NumVGPRsForWavesPerEU: 6
; Occupancy: 10
; WaveLimiterHint : 0
; COMPUTE_PGM_RSRC2:SCRATCH_EN: 0
; COMPUTE_PGM_RSRC2:USER_SGPR: 6
; COMPUTE_PGM_RSRC2:TRAP_HANDLER: 0
; COMPUTE_PGM_RSRC2:TGID_X_EN: 1
; COMPUTE_PGM_RSRC2:TGID_Y_EN: 0
; COMPUTE_PGM_RSRC2:TGID_Z_EN: 0
; COMPUTE_PGM_RSRC2:TIDIG_COMP_CNT: 0
	.section	.text._Z6kernelI6rotatedLj256ELj1ELj100EEvPKT0_PS1_,"axG",@progbits,_Z6kernelI6rotatedLj256ELj1ELj100EEvPKT0_PS1_,comdat
	.protected	_Z6kernelI6rotatedLj256ELj1ELj100EEvPKT0_PS1_ ; -- Begin function _Z6kernelI6rotatedLj256ELj1ELj100EEvPKT0_PS1_
	.globl	_Z6kernelI6rotatedLj256ELj1ELj100EEvPKT0_PS1_
	.p2align	8
	.type	_Z6kernelI6rotatedLj256ELj1ELj100EEvPKT0_PS1_,@function
_Z6kernelI6rotatedLj256ELj1ELj100EEvPKT0_PS1_: ; @_Z6kernelI6rotatedLj256ELj1ELj100EEvPKT0_PS1_
; %bb.0:
	s_load_dwordx4 s[0:3], s[4:5], 0x0
	v_lshl_or_b32 v1, s6, 8, v0
	v_mov_b32_e32 v2, 0
	v_lshlrev_b64 v[1:2], 3, v[1:2]
	v_mov_b32_e32 v6, 0xffffff01
	s_waitcnt lgkmcnt(0)
	v_mov_b32_e32 v4, s1
	v_add_co_u32_e32 v3, vcc, s0, v1
	v_addc_co_u32_e32 v4, vcc, v4, v2, vcc
	global_load_dwordx2 v[3:4], v[3:4], off
	s_movk_i32 s0, 0xfe
	v_cmp_lt_u32_e32 vcc, s0, v0
	v_cndmask_b32_e32 v6, 1, v6, vcc
	v_lshlrev_b32_e32 v5, 3, v0
	v_add_lshl_u32 v0, v6, v0, 3
	s_movk_i32 s0, 0x64
.LBB9_1:                                ; =>This Inner Loop Header: Depth=1
	s_waitcnt vmcnt(0)
	ds_write_b64 v5, v[3:4]
	s_waitcnt lgkmcnt(0)
	s_barrier
	ds_read_b64 v[3:4], v0
	s_add_i32 s0, s0, -1
	s_cmp_lg_u32 s0, 0
	s_waitcnt lgkmcnt(0)
	s_barrier
	s_cbranch_scc1 .LBB9_1
; %bb.2:
	v_mov_b32_e32 v5, s3
	v_add_co_u32_e32 v0, vcc, s2, v1
	v_addc_co_u32_e32 v1, vcc, v5, v2, vcc
	global_store_dwordx2 v[0:1], v[3:4], off
	s_endpgm
	.section	.rodata,"a",@progbits
	.p2align	6, 0x0
	.amdhsa_kernel _Z6kernelI6rotatedLj256ELj1ELj100EEvPKT0_PS1_
		.amdhsa_group_segment_fixed_size 2048
		.amdhsa_private_segment_fixed_size 0
		.amdhsa_kernarg_size 16
		.amdhsa_user_sgpr_count 6
		.amdhsa_user_sgpr_private_segment_buffer 1
		.amdhsa_user_sgpr_dispatch_ptr 0
		.amdhsa_user_sgpr_queue_ptr 0
		.amdhsa_user_sgpr_kernarg_segment_ptr 1
		.amdhsa_user_sgpr_dispatch_id 0
		.amdhsa_user_sgpr_flat_scratch_init 0
		.amdhsa_user_sgpr_private_segment_size 0
		.amdhsa_uses_dynamic_stack 0
		.amdhsa_system_sgpr_private_segment_wavefront_offset 0
		.amdhsa_system_sgpr_workgroup_id_x 1
		.amdhsa_system_sgpr_workgroup_id_y 0
		.amdhsa_system_sgpr_workgroup_id_z 0
		.amdhsa_system_sgpr_workgroup_info 0
		.amdhsa_system_vgpr_workitem_id 0
		.amdhsa_next_free_vgpr 7
		.amdhsa_next_free_sgpr 7
		.amdhsa_reserve_vcc 1
		.amdhsa_reserve_flat_scratch 0
		.amdhsa_float_round_mode_32 0
		.amdhsa_float_round_mode_16_64 0
		.amdhsa_float_denorm_mode_32 3
		.amdhsa_float_denorm_mode_16_64 3
		.amdhsa_dx10_clamp 1
		.amdhsa_ieee_mode 1
		.amdhsa_fp16_overflow 0
		.amdhsa_exception_fp_ieee_invalid_op 0
		.amdhsa_exception_fp_denorm_src 0
		.amdhsa_exception_fp_ieee_div_zero 0
		.amdhsa_exception_fp_ieee_overflow 0
		.amdhsa_exception_fp_ieee_underflow 0
		.amdhsa_exception_fp_ieee_inexact 0
		.amdhsa_exception_int_div_zero 0
	.end_amdhsa_kernel
	.section	.text._Z6kernelI6rotatedLj256ELj1ELj100EEvPKT0_PS1_,"axG",@progbits,_Z6kernelI6rotatedLj256ELj1ELj100EEvPKT0_PS1_,comdat
.Lfunc_end9:
	.size	_Z6kernelI6rotatedLj256ELj1ELj100EEvPKT0_PS1_, .Lfunc_end9-_Z6kernelI6rotatedLj256ELj1ELj100EEvPKT0_PS1_
                                        ; -- End function
	.set _Z6kernelI6rotatedLj256ELj1ELj100EEvPKT0_PS1_.num_vgpr, 7
	.set _Z6kernelI6rotatedLj256ELj1ELj100EEvPKT0_PS1_.num_agpr, 0
	.set _Z6kernelI6rotatedLj256ELj1ELj100EEvPKT0_PS1_.numbered_sgpr, 7
	.set _Z6kernelI6rotatedLj256ELj1ELj100EEvPKT0_PS1_.num_named_barrier, 0
	.set _Z6kernelI6rotatedLj256ELj1ELj100EEvPKT0_PS1_.private_seg_size, 0
	.set _Z6kernelI6rotatedLj256ELj1ELj100EEvPKT0_PS1_.uses_vcc, 1
	.set _Z6kernelI6rotatedLj256ELj1ELj100EEvPKT0_PS1_.uses_flat_scratch, 0
	.set _Z6kernelI6rotatedLj256ELj1ELj100EEvPKT0_PS1_.has_dyn_sized_stack, 0
	.set _Z6kernelI6rotatedLj256ELj1ELj100EEvPKT0_PS1_.has_recursion, 0
	.set _Z6kernelI6rotatedLj256ELj1ELj100EEvPKT0_PS1_.has_indirect_call, 0
	.section	.AMDGPU.csdata,"",@progbits
; Kernel info:
; codeLenInByte = 160
; TotalNumSgprs: 11
; NumVgprs: 7
; ScratchSize: 0
; MemoryBound: 0
; FloatMode: 240
; IeeeMode: 1
; LDSByteSize: 2048 bytes/workgroup (compile time only)
; SGPRBlocks: 1
; VGPRBlocks: 1
; NumSGPRsForWavesPerEU: 11
; NumVGPRsForWavesPerEU: 7
; Occupancy: 10
; WaveLimiterHint : 0
; COMPUTE_PGM_RSRC2:SCRATCH_EN: 0
; COMPUTE_PGM_RSRC2:USER_SGPR: 6
; COMPUTE_PGM_RSRC2:TRAP_HANDLER: 0
; COMPUTE_PGM_RSRC2:TGID_X_EN: 1
; COMPUTE_PGM_RSRC2:TGID_Y_EN: 0
; COMPUTE_PGM_RSRC2:TGID_Z_EN: 0
; COMPUTE_PGM_RSRC2:TIDIG_COMP_CNT: 0
	.section	.text._Z6kernelI6rotateaLj256ELj1ELj100EEvPKT0_PS1_,"axG",@progbits,_Z6kernelI6rotateaLj256ELj1ELj100EEvPKT0_PS1_,comdat
	.protected	_Z6kernelI6rotateaLj256ELj1ELj100EEvPKT0_PS1_ ; -- Begin function _Z6kernelI6rotateaLj256ELj1ELj100EEvPKT0_PS1_
	.globl	_Z6kernelI6rotateaLj256ELj1ELj100EEvPKT0_PS1_
	.p2align	8
	.type	_Z6kernelI6rotateaLj256ELj1ELj100EEvPKT0_PS1_,@function
_Z6kernelI6rotateaLj256ELj1ELj100EEvPKT0_PS1_: ; @_Z6kernelI6rotateaLj256ELj1ELj100EEvPKT0_PS1_
; %bb.0:
	s_load_dwordx4 s[0:3], s[4:5], 0x0
	v_lshl_or_b32 v1, s6, 8, v0
	v_mov_b32_e32 v3, 0xffffff01
	s_waitcnt lgkmcnt(0)
	global_load_ubyte v2, v1, s[0:1]
	s_movk_i32 s0, 0xfe
	v_cmp_lt_u32_e32 vcc, s0, v0
	v_cndmask_b32_e32 v3, 1, v3, vcc
	s_movk_i32 s0, 0x64
	v_add_u32_e32 v3, v3, v0
.LBB10_1:                               ; =>This Inner Loop Header: Depth=1
	s_waitcnt vmcnt(0)
	ds_write_b8 v0, v2
	s_waitcnt lgkmcnt(0)
	s_barrier
	ds_read_u8 v2, v3
	s_add_i32 s0, s0, -1
	s_cmp_lg_u32 s0, 0
	s_waitcnt lgkmcnt(0)
	s_barrier
	s_cbranch_scc1 .LBB10_1
; %bb.2:
	v_mov_b32_e32 v3, s3
	v_add_co_u32_e32 v0, vcc, s2, v1
	v_addc_co_u32_e32 v1, vcc, 0, v3, vcc
	global_store_byte v[0:1], v2, off
	s_endpgm
	.section	.rodata,"a",@progbits
	.p2align	6, 0x0
	.amdhsa_kernel _Z6kernelI6rotateaLj256ELj1ELj100EEvPKT0_PS1_
		.amdhsa_group_segment_fixed_size 256
		.amdhsa_private_segment_fixed_size 0
		.amdhsa_kernarg_size 16
		.amdhsa_user_sgpr_count 6
		.amdhsa_user_sgpr_private_segment_buffer 1
		.amdhsa_user_sgpr_dispatch_ptr 0
		.amdhsa_user_sgpr_queue_ptr 0
		.amdhsa_user_sgpr_kernarg_segment_ptr 1
		.amdhsa_user_sgpr_dispatch_id 0
		.amdhsa_user_sgpr_flat_scratch_init 0
		.amdhsa_user_sgpr_private_segment_size 0
		.amdhsa_uses_dynamic_stack 0
		.amdhsa_system_sgpr_private_segment_wavefront_offset 0
		.amdhsa_system_sgpr_workgroup_id_x 1
		.amdhsa_system_sgpr_workgroup_id_y 0
		.amdhsa_system_sgpr_workgroup_id_z 0
		.amdhsa_system_sgpr_workgroup_info 0
		.amdhsa_system_vgpr_workitem_id 0
		.amdhsa_next_free_vgpr 4
		.amdhsa_next_free_sgpr 7
		.amdhsa_reserve_vcc 1
		.amdhsa_reserve_flat_scratch 0
		.amdhsa_float_round_mode_32 0
		.amdhsa_float_round_mode_16_64 0
		.amdhsa_float_denorm_mode_32 3
		.amdhsa_float_denorm_mode_16_64 3
		.amdhsa_dx10_clamp 1
		.amdhsa_ieee_mode 1
		.amdhsa_fp16_overflow 0
		.amdhsa_exception_fp_ieee_invalid_op 0
		.amdhsa_exception_fp_denorm_src 0
		.amdhsa_exception_fp_ieee_div_zero 0
		.amdhsa_exception_fp_ieee_overflow 0
		.amdhsa_exception_fp_ieee_underflow 0
		.amdhsa_exception_fp_ieee_inexact 0
		.amdhsa_exception_int_div_zero 0
	.end_amdhsa_kernel
	.section	.text._Z6kernelI6rotateaLj256ELj1ELj100EEvPKT0_PS1_,"axG",@progbits,_Z6kernelI6rotateaLj256ELj1ELj100EEvPKT0_PS1_,comdat
.Lfunc_end10:
	.size	_Z6kernelI6rotateaLj256ELj1ELj100EEvPKT0_PS1_, .Lfunc_end10-_Z6kernelI6rotateaLj256ELj1ELj100EEvPKT0_PS1_
                                        ; -- End function
	.set _Z6kernelI6rotateaLj256ELj1ELj100EEvPKT0_PS1_.num_vgpr, 4
	.set _Z6kernelI6rotateaLj256ELj1ELj100EEvPKT0_PS1_.num_agpr, 0
	.set _Z6kernelI6rotateaLj256ELj1ELj100EEvPKT0_PS1_.numbered_sgpr, 7
	.set _Z6kernelI6rotateaLj256ELj1ELj100EEvPKT0_PS1_.num_named_barrier, 0
	.set _Z6kernelI6rotateaLj256ELj1ELj100EEvPKT0_PS1_.private_seg_size, 0
	.set _Z6kernelI6rotateaLj256ELj1ELj100EEvPKT0_PS1_.uses_vcc, 1
	.set _Z6kernelI6rotateaLj256ELj1ELj100EEvPKT0_PS1_.uses_flat_scratch, 0
	.set _Z6kernelI6rotateaLj256ELj1ELj100EEvPKT0_PS1_.has_dyn_sized_stack, 0
	.set _Z6kernelI6rotateaLj256ELj1ELj100EEvPKT0_PS1_.has_recursion, 0
	.set _Z6kernelI6rotateaLj256ELj1ELj100EEvPKT0_PS1_.has_indirect_call, 0
	.section	.AMDGPU.csdata,"",@progbits
; Kernel info:
; codeLenInByte = 128
; TotalNumSgprs: 11
; NumVgprs: 4
; ScratchSize: 0
; MemoryBound: 0
; FloatMode: 240
; IeeeMode: 1
; LDSByteSize: 256 bytes/workgroup (compile time only)
; SGPRBlocks: 1
; VGPRBlocks: 0
; NumSGPRsForWavesPerEU: 11
; NumVGPRsForWavesPerEU: 4
; Occupancy: 10
; WaveLimiterHint : 0
; COMPUTE_PGM_RSRC2:SCRATCH_EN: 0
; COMPUTE_PGM_RSRC2:USER_SGPR: 6
; COMPUTE_PGM_RSRC2:TRAP_HANDLER: 0
; COMPUTE_PGM_RSRC2:TGID_X_EN: 1
; COMPUTE_PGM_RSRC2:TGID_Y_EN: 0
; COMPUTE_PGM_RSRC2:TGID_Z_EN: 0
; COMPUTE_PGM_RSRC2:TIDIG_COMP_CNT: 0
	.section	.text._Z6kernelI6rotatexLj256ELj1ELj100EEvPKT0_PS1_,"axG",@progbits,_Z6kernelI6rotatexLj256ELj1ELj100EEvPKT0_PS1_,comdat
	.protected	_Z6kernelI6rotatexLj256ELj1ELj100EEvPKT0_PS1_ ; -- Begin function _Z6kernelI6rotatexLj256ELj1ELj100EEvPKT0_PS1_
	.globl	_Z6kernelI6rotatexLj256ELj1ELj100EEvPKT0_PS1_
	.p2align	8
	.type	_Z6kernelI6rotatexLj256ELj1ELj100EEvPKT0_PS1_,@function
_Z6kernelI6rotatexLj256ELj1ELj100EEvPKT0_PS1_: ; @_Z6kernelI6rotatexLj256ELj1ELj100EEvPKT0_PS1_
; %bb.0:
	s_load_dwordx4 s[0:3], s[4:5], 0x0
	v_lshl_or_b32 v1, s6, 8, v0
	v_mov_b32_e32 v2, 0
	v_lshlrev_b64 v[1:2], 3, v[1:2]
	v_mov_b32_e32 v6, 0xffffff01
	s_waitcnt lgkmcnt(0)
	v_mov_b32_e32 v4, s1
	v_add_co_u32_e32 v3, vcc, s0, v1
	v_addc_co_u32_e32 v4, vcc, v4, v2, vcc
	global_load_dwordx2 v[3:4], v[3:4], off
	s_movk_i32 s0, 0xfe
	v_cmp_lt_u32_e32 vcc, s0, v0
	v_cndmask_b32_e32 v6, 1, v6, vcc
	v_lshlrev_b32_e32 v5, 3, v0
	v_add_lshl_u32 v0, v6, v0, 3
	s_movk_i32 s0, 0x64
.LBB11_1:                               ; =>This Inner Loop Header: Depth=1
	s_waitcnt vmcnt(0)
	ds_write_b64 v5, v[3:4]
	s_waitcnt lgkmcnt(0)
	s_barrier
	ds_read_b64 v[3:4], v0
	s_add_i32 s0, s0, -1
	s_cmp_lg_u32 s0, 0
	s_waitcnt lgkmcnt(0)
	s_barrier
	s_cbranch_scc1 .LBB11_1
; %bb.2:
	v_mov_b32_e32 v5, s3
	v_add_co_u32_e32 v0, vcc, s2, v1
	v_addc_co_u32_e32 v1, vcc, v5, v2, vcc
	global_store_dwordx2 v[0:1], v[3:4], off
	s_endpgm
	.section	.rodata,"a",@progbits
	.p2align	6, 0x0
	.amdhsa_kernel _Z6kernelI6rotatexLj256ELj1ELj100EEvPKT0_PS1_
		.amdhsa_group_segment_fixed_size 2048
		.amdhsa_private_segment_fixed_size 0
		.amdhsa_kernarg_size 16
		.amdhsa_user_sgpr_count 6
		.amdhsa_user_sgpr_private_segment_buffer 1
		.amdhsa_user_sgpr_dispatch_ptr 0
		.amdhsa_user_sgpr_queue_ptr 0
		.amdhsa_user_sgpr_kernarg_segment_ptr 1
		.amdhsa_user_sgpr_dispatch_id 0
		.amdhsa_user_sgpr_flat_scratch_init 0
		.amdhsa_user_sgpr_private_segment_size 0
		.amdhsa_uses_dynamic_stack 0
		.amdhsa_system_sgpr_private_segment_wavefront_offset 0
		.amdhsa_system_sgpr_workgroup_id_x 1
		.amdhsa_system_sgpr_workgroup_id_y 0
		.amdhsa_system_sgpr_workgroup_id_z 0
		.amdhsa_system_sgpr_workgroup_info 0
		.amdhsa_system_vgpr_workitem_id 0
		.amdhsa_next_free_vgpr 7
		.amdhsa_next_free_sgpr 7
		.amdhsa_reserve_vcc 1
		.amdhsa_reserve_flat_scratch 0
		.amdhsa_float_round_mode_32 0
		.amdhsa_float_round_mode_16_64 0
		.amdhsa_float_denorm_mode_32 3
		.amdhsa_float_denorm_mode_16_64 3
		.amdhsa_dx10_clamp 1
		.amdhsa_ieee_mode 1
		.amdhsa_fp16_overflow 0
		.amdhsa_exception_fp_ieee_invalid_op 0
		.amdhsa_exception_fp_denorm_src 0
		.amdhsa_exception_fp_ieee_div_zero 0
		.amdhsa_exception_fp_ieee_overflow 0
		.amdhsa_exception_fp_ieee_underflow 0
		.amdhsa_exception_fp_ieee_inexact 0
		.amdhsa_exception_int_div_zero 0
	.end_amdhsa_kernel
	.section	.text._Z6kernelI6rotatexLj256ELj1ELj100EEvPKT0_PS1_,"axG",@progbits,_Z6kernelI6rotatexLj256ELj1ELj100EEvPKT0_PS1_,comdat
.Lfunc_end11:
	.size	_Z6kernelI6rotatexLj256ELj1ELj100EEvPKT0_PS1_, .Lfunc_end11-_Z6kernelI6rotatexLj256ELj1ELj100EEvPKT0_PS1_
                                        ; -- End function
	.set _Z6kernelI6rotatexLj256ELj1ELj100EEvPKT0_PS1_.num_vgpr, 7
	.set _Z6kernelI6rotatexLj256ELj1ELj100EEvPKT0_PS1_.num_agpr, 0
	.set _Z6kernelI6rotatexLj256ELj1ELj100EEvPKT0_PS1_.numbered_sgpr, 7
	.set _Z6kernelI6rotatexLj256ELj1ELj100EEvPKT0_PS1_.num_named_barrier, 0
	.set _Z6kernelI6rotatexLj256ELj1ELj100EEvPKT0_PS1_.private_seg_size, 0
	.set _Z6kernelI6rotatexLj256ELj1ELj100EEvPKT0_PS1_.uses_vcc, 1
	.set _Z6kernelI6rotatexLj256ELj1ELj100EEvPKT0_PS1_.uses_flat_scratch, 0
	.set _Z6kernelI6rotatexLj256ELj1ELj100EEvPKT0_PS1_.has_dyn_sized_stack, 0
	.set _Z6kernelI6rotatexLj256ELj1ELj100EEvPKT0_PS1_.has_recursion, 0
	.set _Z6kernelI6rotatexLj256ELj1ELj100EEvPKT0_PS1_.has_indirect_call, 0
	.section	.AMDGPU.csdata,"",@progbits
; Kernel info:
; codeLenInByte = 160
; TotalNumSgprs: 11
; NumVgprs: 7
; ScratchSize: 0
; MemoryBound: 0
; FloatMode: 240
; IeeeMode: 1
; LDSByteSize: 2048 bytes/workgroup (compile time only)
; SGPRBlocks: 1
; VGPRBlocks: 1
; NumSGPRsForWavesPerEU: 11
; NumVGPRsForWavesPerEU: 7
; Occupancy: 10
; WaveLimiterHint : 0
; COMPUTE_PGM_RSRC2:SCRATCH_EN: 0
; COMPUTE_PGM_RSRC2:USER_SGPR: 6
; COMPUTE_PGM_RSRC2:TRAP_HANDLER: 0
; COMPUTE_PGM_RSRC2:TGID_X_EN: 1
; COMPUTE_PGM_RSRC2:TGID_Y_EN: 0
; COMPUTE_PGM_RSRC2:TGID_Z_EN: 0
; COMPUTE_PGM_RSRC2:TIDIG_COMP_CNT: 0
	.section	.text._Z6kernelI6rotateN15benchmark_utils11custom_typeIffEELj256ELj1ELj100EEvPKT0_PS4_,"axG",@progbits,_Z6kernelI6rotateN15benchmark_utils11custom_typeIffEELj256ELj1ELj100EEvPKT0_PS4_,comdat
	.protected	_Z6kernelI6rotateN15benchmark_utils11custom_typeIffEELj256ELj1ELj100EEvPKT0_PS4_ ; -- Begin function _Z6kernelI6rotateN15benchmark_utils11custom_typeIffEELj256ELj1ELj100EEvPKT0_PS4_
	.globl	_Z6kernelI6rotateN15benchmark_utils11custom_typeIffEELj256ELj1ELj100EEvPKT0_PS4_
	.p2align	8
	.type	_Z6kernelI6rotateN15benchmark_utils11custom_typeIffEELj256ELj1ELj100EEvPKT0_PS4_,@function
_Z6kernelI6rotateN15benchmark_utils11custom_typeIffEELj256ELj1ELj100EEvPKT0_PS4_: ; @_Z6kernelI6rotateN15benchmark_utils11custom_typeIffEELj256ELj1ELj100EEvPKT0_PS4_
; %bb.0:
	s_load_dwordx4 s[0:3], s[4:5], 0x0
	v_lshl_or_b32 v1, s6, 8, v0
	v_mov_b32_e32 v2, 0
	v_lshlrev_b64 v[1:2], 3, v[1:2]
	v_mov_b32_e32 v6, 0xffffff01
	s_waitcnt lgkmcnt(0)
	v_mov_b32_e32 v4, s1
	v_add_co_u32_e32 v3, vcc, s0, v1
	v_addc_co_u32_e32 v4, vcc, v4, v2, vcc
	global_load_dwordx2 v[3:4], v[3:4], off
	s_movk_i32 s0, 0xfe
	v_cmp_lt_u32_e32 vcc, s0, v0
	v_cndmask_b32_e32 v6, 1, v6, vcc
	v_lshlrev_b32_e32 v5, 3, v0
	v_add_lshl_u32 v0, v6, v0, 3
	s_movk_i32 s0, 0x64
.LBB12_1:                               ; =>This Inner Loop Header: Depth=1
	s_waitcnt vmcnt(0)
	ds_write2_b32 v5, v3, v4 offset1:1
	s_waitcnt lgkmcnt(0)
	s_barrier
	ds_read2_b32 v[3:4], v0 offset1:1
	s_add_i32 s0, s0, -1
	s_cmp_lg_u32 s0, 0
	s_waitcnt lgkmcnt(0)
	s_barrier
	s_cbranch_scc1 .LBB12_1
; %bb.2:
	v_mov_b32_e32 v5, s3
	v_add_co_u32_e32 v0, vcc, s2, v1
	v_addc_co_u32_e32 v1, vcc, v5, v2, vcc
	global_store_dwordx2 v[0:1], v[3:4], off
	s_endpgm
	.section	.rodata,"a",@progbits
	.p2align	6, 0x0
	.amdhsa_kernel _Z6kernelI6rotateN15benchmark_utils11custom_typeIffEELj256ELj1ELj100EEvPKT0_PS4_
		.amdhsa_group_segment_fixed_size 2048
		.amdhsa_private_segment_fixed_size 0
		.amdhsa_kernarg_size 16
		.amdhsa_user_sgpr_count 6
		.amdhsa_user_sgpr_private_segment_buffer 1
		.amdhsa_user_sgpr_dispatch_ptr 0
		.amdhsa_user_sgpr_queue_ptr 0
		.amdhsa_user_sgpr_kernarg_segment_ptr 1
		.amdhsa_user_sgpr_dispatch_id 0
		.amdhsa_user_sgpr_flat_scratch_init 0
		.amdhsa_user_sgpr_private_segment_size 0
		.amdhsa_uses_dynamic_stack 0
		.amdhsa_system_sgpr_private_segment_wavefront_offset 0
		.amdhsa_system_sgpr_workgroup_id_x 1
		.amdhsa_system_sgpr_workgroup_id_y 0
		.amdhsa_system_sgpr_workgroup_id_z 0
		.amdhsa_system_sgpr_workgroup_info 0
		.amdhsa_system_vgpr_workitem_id 0
		.amdhsa_next_free_vgpr 7
		.amdhsa_next_free_sgpr 7
		.amdhsa_reserve_vcc 1
		.amdhsa_reserve_flat_scratch 0
		.amdhsa_float_round_mode_32 0
		.amdhsa_float_round_mode_16_64 0
		.amdhsa_float_denorm_mode_32 3
		.amdhsa_float_denorm_mode_16_64 3
		.amdhsa_dx10_clamp 1
		.amdhsa_ieee_mode 1
		.amdhsa_fp16_overflow 0
		.amdhsa_exception_fp_ieee_invalid_op 0
		.amdhsa_exception_fp_denorm_src 0
		.amdhsa_exception_fp_ieee_div_zero 0
		.amdhsa_exception_fp_ieee_overflow 0
		.amdhsa_exception_fp_ieee_underflow 0
		.amdhsa_exception_fp_ieee_inexact 0
		.amdhsa_exception_int_div_zero 0
	.end_amdhsa_kernel
	.section	.text._Z6kernelI6rotateN15benchmark_utils11custom_typeIffEELj256ELj1ELj100EEvPKT0_PS4_,"axG",@progbits,_Z6kernelI6rotateN15benchmark_utils11custom_typeIffEELj256ELj1ELj100EEvPKT0_PS4_,comdat
.Lfunc_end12:
	.size	_Z6kernelI6rotateN15benchmark_utils11custom_typeIffEELj256ELj1ELj100EEvPKT0_PS4_, .Lfunc_end12-_Z6kernelI6rotateN15benchmark_utils11custom_typeIffEELj256ELj1ELj100EEvPKT0_PS4_
                                        ; -- End function
	.set _Z6kernelI6rotateN15benchmark_utils11custom_typeIffEELj256ELj1ELj100EEvPKT0_PS4_.num_vgpr, 7
	.set _Z6kernelI6rotateN15benchmark_utils11custom_typeIffEELj256ELj1ELj100EEvPKT0_PS4_.num_agpr, 0
	.set _Z6kernelI6rotateN15benchmark_utils11custom_typeIffEELj256ELj1ELj100EEvPKT0_PS4_.numbered_sgpr, 7
	.set _Z6kernelI6rotateN15benchmark_utils11custom_typeIffEELj256ELj1ELj100EEvPKT0_PS4_.num_named_barrier, 0
	.set _Z6kernelI6rotateN15benchmark_utils11custom_typeIffEELj256ELj1ELj100EEvPKT0_PS4_.private_seg_size, 0
	.set _Z6kernelI6rotateN15benchmark_utils11custom_typeIffEELj256ELj1ELj100EEvPKT0_PS4_.uses_vcc, 1
	.set _Z6kernelI6rotateN15benchmark_utils11custom_typeIffEELj256ELj1ELj100EEvPKT0_PS4_.uses_flat_scratch, 0
	.set _Z6kernelI6rotateN15benchmark_utils11custom_typeIffEELj256ELj1ELj100EEvPKT0_PS4_.has_dyn_sized_stack, 0
	.set _Z6kernelI6rotateN15benchmark_utils11custom_typeIffEELj256ELj1ELj100EEvPKT0_PS4_.has_recursion, 0
	.set _Z6kernelI6rotateN15benchmark_utils11custom_typeIffEELj256ELj1ELj100EEvPKT0_PS4_.has_indirect_call, 0
	.section	.AMDGPU.csdata,"",@progbits
; Kernel info:
; codeLenInByte = 160
; TotalNumSgprs: 11
; NumVgprs: 7
; ScratchSize: 0
; MemoryBound: 0
; FloatMode: 240
; IeeeMode: 1
; LDSByteSize: 2048 bytes/workgroup (compile time only)
; SGPRBlocks: 1
; VGPRBlocks: 1
; NumSGPRsForWavesPerEU: 11
; NumVGPRsForWavesPerEU: 7
; Occupancy: 10
; WaveLimiterHint : 0
; COMPUTE_PGM_RSRC2:SCRATCH_EN: 0
; COMPUTE_PGM_RSRC2:USER_SGPR: 6
; COMPUTE_PGM_RSRC2:TRAP_HANDLER: 0
; COMPUTE_PGM_RSRC2:TGID_X_EN: 1
; COMPUTE_PGM_RSRC2:TGID_Y_EN: 0
; COMPUTE_PGM_RSRC2:TGID_Z_EN: 0
; COMPUTE_PGM_RSRC2:TIDIG_COMP_CNT: 0
	.section	.text._Z6kernelI6rotateN15benchmark_utils11custom_typeIddEELj256ELj1ELj100EEvPKT0_PS4_,"axG",@progbits,_Z6kernelI6rotateN15benchmark_utils11custom_typeIddEELj256ELj1ELj100EEvPKT0_PS4_,comdat
	.protected	_Z6kernelI6rotateN15benchmark_utils11custom_typeIddEELj256ELj1ELj100EEvPKT0_PS4_ ; -- Begin function _Z6kernelI6rotateN15benchmark_utils11custom_typeIddEELj256ELj1ELj100EEvPKT0_PS4_
	.globl	_Z6kernelI6rotateN15benchmark_utils11custom_typeIddEELj256ELj1ELj100EEvPKT0_PS4_
	.p2align	8
	.type	_Z6kernelI6rotateN15benchmark_utils11custom_typeIddEELj256ELj1ELj100EEvPKT0_PS4_,@function
_Z6kernelI6rotateN15benchmark_utils11custom_typeIddEELj256ELj1ELj100EEvPKT0_PS4_: ; @_Z6kernelI6rotateN15benchmark_utils11custom_typeIddEELj256ELj1ELj100EEvPKT0_PS4_
; %bb.0:
	s_load_dwordx4 s[0:3], s[4:5], 0x0
	v_lshl_or_b32 v1, s6, 8, v0
	v_mov_b32_e32 v2, 0
	v_lshlrev_b64 v[5:6], 4, v[1:2]
	v_mov_b32_e32 v8, 0xffffff01
	s_waitcnt lgkmcnt(0)
	v_mov_b32_e32 v2, s1
	v_add_co_u32_e32 v1, vcc, s0, v5
	v_addc_co_u32_e32 v2, vcc, v2, v6, vcc
	global_load_dwordx4 v[1:4], v[1:2], off
	s_movk_i32 s0, 0xfe
	v_cmp_lt_u32_e32 vcc, s0, v0
	v_cndmask_b32_e32 v8, 1, v8, vcc
	v_lshlrev_b32_e32 v7, 4, v0
	v_add_lshl_u32 v0, v8, v0, 4
	s_movk_i32 s0, 0x64
.LBB13_1:                               ; =>This Inner Loop Header: Depth=1
	s_waitcnt vmcnt(0)
	ds_write2_b64 v7, v[1:2], v[3:4] offset1:1
	s_waitcnt lgkmcnt(0)
	s_barrier
	ds_read2_b64 v[1:4], v0 offset1:1
	s_add_i32 s0, s0, -1
	s_cmp_lg_u32 s0, 0
	s_waitcnt lgkmcnt(0)
	s_barrier
	s_cbranch_scc1 .LBB13_1
; %bb.2:
	v_mov_b32_e32 v0, s3
	v_add_co_u32_e32 v5, vcc, s2, v5
	v_addc_co_u32_e32 v6, vcc, v0, v6, vcc
	global_store_dwordx4 v[5:6], v[1:4], off
	s_endpgm
	.section	.rodata,"a",@progbits
	.p2align	6, 0x0
	.amdhsa_kernel _Z6kernelI6rotateN15benchmark_utils11custom_typeIddEELj256ELj1ELj100EEvPKT0_PS4_
		.amdhsa_group_segment_fixed_size 4096
		.amdhsa_private_segment_fixed_size 0
		.amdhsa_kernarg_size 16
		.amdhsa_user_sgpr_count 6
		.amdhsa_user_sgpr_private_segment_buffer 1
		.amdhsa_user_sgpr_dispatch_ptr 0
		.amdhsa_user_sgpr_queue_ptr 0
		.amdhsa_user_sgpr_kernarg_segment_ptr 1
		.amdhsa_user_sgpr_dispatch_id 0
		.amdhsa_user_sgpr_flat_scratch_init 0
		.amdhsa_user_sgpr_private_segment_size 0
		.amdhsa_uses_dynamic_stack 0
		.amdhsa_system_sgpr_private_segment_wavefront_offset 0
		.amdhsa_system_sgpr_workgroup_id_x 1
		.amdhsa_system_sgpr_workgroup_id_y 0
		.amdhsa_system_sgpr_workgroup_id_z 0
		.amdhsa_system_sgpr_workgroup_info 0
		.amdhsa_system_vgpr_workitem_id 0
		.amdhsa_next_free_vgpr 9
		.amdhsa_next_free_sgpr 7
		.amdhsa_reserve_vcc 1
		.amdhsa_reserve_flat_scratch 0
		.amdhsa_float_round_mode_32 0
		.amdhsa_float_round_mode_16_64 0
		.amdhsa_float_denorm_mode_32 3
		.amdhsa_float_denorm_mode_16_64 3
		.amdhsa_dx10_clamp 1
		.amdhsa_ieee_mode 1
		.amdhsa_fp16_overflow 0
		.amdhsa_exception_fp_ieee_invalid_op 0
		.amdhsa_exception_fp_denorm_src 0
		.amdhsa_exception_fp_ieee_div_zero 0
		.amdhsa_exception_fp_ieee_overflow 0
		.amdhsa_exception_fp_ieee_underflow 0
		.amdhsa_exception_fp_ieee_inexact 0
		.amdhsa_exception_int_div_zero 0
	.end_amdhsa_kernel
	.section	.text._Z6kernelI6rotateN15benchmark_utils11custom_typeIddEELj256ELj1ELj100EEvPKT0_PS4_,"axG",@progbits,_Z6kernelI6rotateN15benchmark_utils11custom_typeIddEELj256ELj1ELj100EEvPKT0_PS4_,comdat
.Lfunc_end13:
	.size	_Z6kernelI6rotateN15benchmark_utils11custom_typeIddEELj256ELj1ELj100EEvPKT0_PS4_, .Lfunc_end13-_Z6kernelI6rotateN15benchmark_utils11custom_typeIddEELj256ELj1ELj100EEvPKT0_PS4_
                                        ; -- End function
	.set _Z6kernelI6rotateN15benchmark_utils11custom_typeIddEELj256ELj1ELj100EEvPKT0_PS4_.num_vgpr, 9
	.set _Z6kernelI6rotateN15benchmark_utils11custom_typeIddEELj256ELj1ELj100EEvPKT0_PS4_.num_agpr, 0
	.set _Z6kernelI6rotateN15benchmark_utils11custom_typeIddEELj256ELj1ELj100EEvPKT0_PS4_.numbered_sgpr, 7
	.set _Z6kernelI6rotateN15benchmark_utils11custom_typeIddEELj256ELj1ELj100EEvPKT0_PS4_.num_named_barrier, 0
	.set _Z6kernelI6rotateN15benchmark_utils11custom_typeIddEELj256ELj1ELj100EEvPKT0_PS4_.private_seg_size, 0
	.set _Z6kernelI6rotateN15benchmark_utils11custom_typeIddEELj256ELj1ELj100EEvPKT0_PS4_.uses_vcc, 1
	.set _Z6kernelI6rotateN15benchmark_utils11custom_typeIddEELj256ELj1ELj100EEvPKT0_PS4_.uses_flat_scratch, 0
	.set _Z6kernelI6rotateN15benchmark_utils11custom_typeIddEELj256ELj1ELj100EEvPKT0_PS4_.has_dyn_sized_stack, 0
	.set _Z6kernelI6rotateN15benchmark_utils11custom_typeIddEELj256ELj1ELj100EEvPKT0_PS4_.has_recursion, 0
	.set _Z6kernelI6rotateN15benchmark_utils11custom_typeIddEELj256ELj1ELj100EEvPKT0_PS4_.has_indirect_call, 0
	.section	.AMDGPU.csdata,"",@progbits
; Kernel info:
; codeLenInByte = 160
; TotalNumSgprs: 11
; NumVgprs: 9
; ScratchSize: 0
; MemoryBound: 0
; FloatMode: 240
; IeeeMode: 1
; LDSByteSize: 4096 bytes/workgroup (compile time only)
; SGPRBlocks: 1
; VGPRBlocks: 2
; NumSGPRsForWavesPerEU: 11
; NumVGPRsForWavesPerEU: 9
; Occupancy: 10
; WaveLimiterHint : 0
; COMPUTE_PGM_RSRC2:SCRATCH_EN: 0
; COMPUTE_PGM_RSRC2:USER_SGPR: 6
; COMPUTE_PGM_RSRC2:TRAP_HANDLER: 0
; COMPUTE_PGM_RSRC2:TGID_X_EN: 1
; COMPUTE_PGM_RSRC2:TGID_Y_EN: 0
; COMPUTE_PGM_RSRC2:TGID_Z_EN: 0
; COMPUTE_PGM_RSRC2:TIDIG_COMP_CNT: 0
	.section	.text._Z6kernelI2upiLj256ELj1ELj100EEvPKT0_PS1_,"axG",@progbits,_Z6kernelI2upiLj256ELj1ELj100EEvPKT0_PS1_,comdat
	.protected	_Z6kernelI2upiLj256ELj1ELj100EEvPKT0_PS1_ ; -- Begin function _Z6kernelI2upiLj256ELj1ELj100EEvPKT0_PS1_
	.globl	_Z6kernelI2upiLj256ELj1ELj100EEvPKT0_PS1_
	.p2align	8
	.type	_Z6kernelI2upiLj256ELj1ELj100EEvPKT0_PS1_,@function
_Z6kernelI2upiLj256ELj1ELj100EEvPKT0_PS1_: ; @_Z6kernelI2upiLj256ELj1ELj100EEvPKT0_PS1_
; %bb.0:
	s_load_dwordx4 s[0:3], s[4:5], 0x0
	v_lshl_or_b32 v1, s6, 8, v0
	v_mov_b32_e32 v2, 0
	v_lshlrev_b64 v[1:2], 2, v[1:2]
	s_movk_i32 s4, 0x64
	s_waitcnt lgkmcnt(0)
	v_mov_b32_e32 v4, s1
	v_add_co_u32_e32 v3, vcc, s0, v1
	v_addc_co_u32_e32 v4, vcc, v4, v2, vcc
	global_load_dword v3, v[3:4], off
	v_lshlrev_b32_e32 v4, 2, v0
	v_cmp_ne_u32_e32 vcc, 0, v0
	v_add_u32_e32 v0, -4, v4
	s_branch .LBB14_2
.LBB14_1:                               ;   in Loop: Header=BB14_2 Depth=1
	s_or_b64 exec, exec, s[0:1]
	s_add_i32 s4, s4, -1
	s_cmp_lg_u32 s4, 0
	s_waitcnt lgkmcnt(0)
	s_barrier
	s_cbranch_scc0 .LBB14_4
.LBB14_2:                               ; =>This Inner Loop Header: Depth=1
	s_waitcnt vmcnt(0)
	ds_write_b32 v4, v3
	s_waitcnt lgkmcnt(0)
	s_barrier
	s_and_saveexec_b64 s[0:1], vcc
	s_cbranch_execz .LBB14_1
; %bb.3:                                ;   in Loop: Header=BB14_2 Depth=1
	ds_read_b32 v3, v0
	s_branch .LBB14_1
.LBB14_4:
	v_mov_b32_e32 v4, s3
	v_add_co_u32_e32 v0, vcc, s2, v1
	v_addc_co_u32_e32 v1, vcc, v4, v2, vcc
	global_store_dword v[0:1], v3, off
	s_endpgm
	.section	.rodata,"a",@progbits
	.p2align	6, 0x0
	.amdhsa_kernel _Z6kernelI2upiLj256ELj1ELj100EEvPKT0_PS1_
		.amdhsa_group_segment_fixed_size 1024
		.amdhsa_private_segment_fixed_size 0
		.amdhsa_kernarg_size 16
		.amdhsa_user_sgpr_count 6
		.amdhsa_user_sgpr_private_segment_buffer 1
		.amdhsa_user_sgpr_dispatch_ptr 0
		.amdhsa_user_sgpr_queue_ptr 0
		.amdhsa_user_sgpr_kernarg_segment_ptr 1
		.amdhsa_user_sgpr_dispatch_id 0
		.amdhsa_user_sgpr_flat_scratch_init 0
		.amdhsa_user_sgpr_private_segment_size 0
		.amdhsa_uses_dynamic_stack 0
		.amdhsa_system_sgpr_private_segment_wavefront_offset 0
		.amdhsa_system_sgpr_workgroup_id_x 1
		.amdhsa_system_sgpr_workgroup_id_y 0
		.amdhsa_system_sgpr_workgroup_id_z 0
		.amdhsa_system_sgpr_workgroup_info 0
		.amdhsa_system_vgpr_workitem_id 0
		.amdhsa_next_free_vgpr 5
		.amdhsa_next_free_sgpr 7
		.amdhsa_reserve_vcc 1
		.amdhsa_reserve_flat_scratch 0
		.amdhsa_float_round_mode_32 0
		.amdhsa_float_round_mode_16_64 0
		.amdhsa_float_denorm_mode_32 3
		.amdhsa_float_denorm_mode_16_64 3
		.amdhsa_dx10_clamp 1
		.amdhsa_ieee_mode 1
		.amdhsa_fp16_overflow 0
		.amdhsa_exception_fp_ieee_invalid_op 0
		.amdhsa_exception_fp_denorm_src 0
		.amdhsa_exception_fp_ieee_div_zero 0
		.amdhsa_exception_fp_ieee_overflow 0
		.amdhsa_exception_fp_ieee_underflow 0
		.amdhsa_exception_fp_ieee_inexact 0
		.amdhsa_exception_int_div_zero 0
	.end_amdhsa_kernel
	.section	.text._Z6kernelI2upiLj256ELj1ELj100EEvPKT0_PS1_,"axG",@progbits,_Z6kernelI2upiLj256ELj1ELj100EEvPKT0_PS1_,comdat
.Lfunc_end14:
	.size	_Z6kernelI2upiLj256ELj1ELj100EEvPKT0_PS1_, .Lfunc_end14-_Z6kernelI2upiLj256ELj1ELj100EEvPKT0_PS1_
                                        ; -- End function
	.set _Z6kernelI2upiLj256ELj1ELj100EEvPKT0_PS1_.num_vgpr, 5
	.set _Z6kernelI2upiLj256ELj1ELj100EEvPKT0_PS1_.num_agpr, 0
	.set _Z6kernelI2upiLj256ELj1ELj100EEvPKT0_PS1_.numbered_sgpr, 7
	.set _Z6kernelI2upiLj256ELj1ELj100EEvPKT0_PS1_.num_named_barrier, 0
	.set _Z6kernelI2upiLj256ELj1ELj100EEvPKT0_PS1_.private_seg_size, 0
	.set _Z6kernelI2upiLj256ELj1ELj100EEvPKT0_PS1_.uses_vcc, 1
	.set _Z6kernelI2upiLj256ELj1ELj100EEvPKT0_PS1_.uses_flat_scratch, 0
	.set _Z6kernelI2upiLj256ELj1ELj100EEvPKT0_PS1_.has_dyn_sized_stack, 0
	.set _Z6kernelI2upiLj256ELj1ELj100EEvPKT0_PS1_.has_recursion, 0
	.set _Z6kernelI2upiLj256ELj1ELj100EEvPKT0_PS1_.has_indirect_call, 0
	.section	.AMDGPU.csdata,"",@progbits
; Kernel info:
; codeLenInByte = 160
; TotalNumSgprs: 11
; NumVgprs: 5
; ScratchSize: 0
; MemoryBound: 0
; FloatMode: 240
; IeeeMode: 1
; LDSByteSize: 1024 bytes/workgroup (compile time only)
; SGPRBlocks: 1
; VGPRBlocks: 1
; NumSGPRsForWavesPerEU: 11
; NumVGPRsForWavesPerEU: 5
; Occupancy: 10
; WaveLimiterHint : 0
; COMPUTE_PGM_RSRC2:SCRATCH_EN: 0
; COMPUTE_PGM_RSRC2:USER_SGPR: 6
; COMPUTE_PGM_RSRC2:TRAP_HANDLER: 0
; COMPUTE_PGM_RSRC2:TGID_X_EN: 1
; COMPUTE_PGM_RSRC2:TGID_Y_EN: 0
; COMPUTE_PGM_RSRC2:TGID_Z_EN: 0
; COMPUTE_PGM_RSRC2:TIDIG_COMP_CNT: 0
	.section	.text._Z6kernelI2upiLj256ELj3ELj100EEvPKT0_PS1_,"axG",@progbits,_Z6kernelI2upiLj256ELj3ELj100EEvPKT0_PS1_,comdat
	.protected	_Z6kernelI2upiLj256ELj3ELj100EEvPKT0_PS1_ ; -- Begin function _Z6kernelI2upiLj256ELj3ELj100EEvPKT0_PS1_
	.globl	_Z6kernelI2upiLj256ELj3ELj100EEvPKT0_PS1_
	.p2align	8
	.type	_Z6kernelI2upiLj256ELj3ELj100EEvPKT0_PS1_,@function
_Z6kernelI2upiLj256ELj3ELj100EEvPKT0_PS1_: ; @_Z6kernelI2upiLj256ELj3ELj100EEvPKT0_PS1_
; %bb.0:
	s_load_dwordx4 s[0:3], s[4:5], 0x0
	v_lshl_or_b32 v1, s6, 8, v0
	v_lshl_add_u32 v5, v1, 1, v1
	v_mov_b32_e32 v6, 0
	v_lshlrev_b64 v[1:2], 2, v[5:6]
	s_waitcnt lgkmcnt(0)
	v_mov_b32_e32 v3, s1
	v_add_co_u32_e32 v9, vcc, s0, v1
	v_addc_co_u32_e32 v10, vcc, v3, v2, vcc
	v_add_u32_e32 v3, 1, v5
	v_mov_b32_e32 v4, v6
	v_lshlrev_b64 v[3:4], 2, v[3:4]
	v_add_u32_e32 v5, 2, v5
	v_mov_b32_e32 v7, s1
	v_add_co_u32_e32 v12, vcc, s0, v3
	v_lshlrev_b64 v[5:6], 2, v[5:6]
	v_addc_co_u32_e32 v13, vcc, v7, v4, vcc
	v_add_co_u32_e32 v14, vcc, s0, v5
	v_addc_co_u32_e32 v15, vcc, v7, v6, vcc
	global_load_dword v8, v[9:10], off
	global_load_dword v7, v[12:13], off
	;; [unrolled: 1-line block ×3, first 2 shown]
	v_lshlrev_b32_e32 v9, 2, v0
	v_cmp_ne_u32_e32 vcc, 0, v0
	v_add_u32_e32 v10, -4, v9
	s_movk_i32 s4, 0x64
.LBB15_1:                               ; =>This Inner Loop Header: Depth=1
	s_waitcnt vmcnt(1)
	v_mov_b32_e32 v0, v7
	v_mov_b32_e32 v7, v8
	s_waitcnt vmcnt(0)
	ds_write_b32 v9, v11
	s_waitcnt lgkmcnt(0)
	s_barrier
	s_and_saveexec_b64 s[0:1], vcc
; %bb.2:                                ;   in Loop: Header=BB15_1 Depth=1
	ds_read_b32 v8, v10
; %bb.3:                                ;   in Loop: Header=BB15_1 Depth=1
	s_or_b64 exec, exec, s[0:1]
	s_add_i32 s4, s4, -1
	s_cmp_lg_u32 s4, 0
	s_waitcnt lgkmcnt(0)
	s_barrier
	s_cbranch_scc0 .LBB15_5
; %bb.4:                                ;   in Loop: Header=BB15_1 Depth=1
	v_mov_b32_e32 v11, v0
	s_branch .LBB15_1
.LBB15_5:
	v_mov_b32_e32 v9, s3
	v_add_co_u32_e32 v1, vcc, s2, v1
	v_addc_co_u32_e32 v2, vcc, v9, v2, vcc
	global_store_dword v[1:2], v8, off
	v_mov_b32_e32 v2, s3
	v_add_co_u32_e32 v1, vcc, s2, v3
	v_addc_co_u32_e32 v2, vcc, v2, v4, vcc
	global_store_dword v[1:2], v7, off
	;; [unrolled: 4-line block ×3, first 2 shown]
	s_endpgm
	.section	.rodata,"a",@progbits
	.p2align	6, 0x0
	.amdhsa_kernel _Z6kernelI2upiLj256ELj3ELj100EEvPKT0_PS1_
		.amdhsa_group_segment_fixed_size 1024
		.amdhsa_private_segment_fixed_size 0
		.amdhsa_kernarg_size 16
		.amdhsa_user_sgpr_count 6
		.amdhsa_user_sgpr_private_segment_buffer 1
		.amdhsa_user_sgpr_dispatch_ptr 0
		.amdhsa_user_sgpr_queue_ptr 0
		.amdhsa_user_sgpr_kernarg_segment_ptr 1
		.amdhsa_user_sgpr_dispatch_id 0
		.amdhsa_user_sgpr_flat_scratch_init 0
		.amdhsa_user_sgpr_private_segment_size 0
		.amdhsa_uses_dynamic_stack 0
		.amdhsa_system_sgpr_private_segment_wavefront_offset 0
		.amdhsa_system_sgpr_workgroup_id_x 1
		.amdhsa_system_sgpr_workgroup_id_y 0
		.amdhsa_system_sgpr_workgroup_id_z 0
		.amdhsa_system_sgpr_workgroup_info 0
		.amdhsa_system_vgpr_workitem_id 0
		.amdhsa_next_free_vgpr 16
		.amdhsa_next_free_sgpr 7
		.amdhsa_reserve_vcc 1
		.amdhsa_reserve_flat_scratch 0
		.amdhsa_float_round_mode_32 0
		.amdhsa_float_round_mode_16_64 0
		.amdhsa_float_denorm_mode_32 3
		.amdhsa_float_denorm_mode_16_64 3
		.amdhsa_dx10_clamp 1
		.amdhsa_ieee_mode 1
		.amdhsa_fp16_overflow 0
		.amdhsa_exception_fp_ieee_invalid_op 0
		.amdhsa_exception_fp_denorm_src 0
		.amdhsa_exception_fp_ieee_div_zero 0
		.amdhsa_exception_fp_ieee_overflow 0
		.amdhsa_exception_fp_ieee_underflow 0
		.amdhsa_exception_fp_ieee_inexact 0
		.amdhsa_exception_int_div_zero 0
	.end_amdhsa_kernel
	.section	.text._Z6kernelI2upiLj256ELj3ELj100EEvPKT0_PS1_,"axG",@progbits,_Z6kernelI2upiLj256ELj3ELj100EEvPKT0_PS1_,comdat
.Lfunc_end15:
	.size	_Z6kernelI2upiLj256ELj3ELj100EEvPKT0_PS1_, .Lfunc_end15-_Z6kernelI2upiLj256ELj3ELj100EEvPKT0_PS1_
                                        ; -- End function
	.set _Z6kernelI2upiLj256ELj3ELj100EEvPKT0_PS1_.num_vgpr, 16
	.set _Z6kernelI2upiLj256ELj3ELj100EEvPKT0_PS1_.num_agpr, 0
	.set _Z6kernelI2upiLj256ELj3ELj100EEvPKT0_PS1_.numbered_sgpr, 7
	.set _Z6kernelI2upiLj256ELj3ELj100EEvPKT0_PS1_.num_named_barrier, 0
	.set _Z6kernelI2upiLj256ELj3ELj100EEvPKT0_PS1_.private_seg_size, 0
	.set _Z6kernelI2upiLj256ELj3ELj100EEvPKT0_PS1_.uses_vcc, 1
	.set _Z6kernelI2upiLj256ELj3ELj100EEvPKT0_PS1_.uses_flat_scratch, 0
	.set _Z6kernelI2upiLj256ELj3ELj100EEvPKT0_PS1_.has_dyn_sized_stack, 0
	.set _Z6kernelI2upiLj256ELj3ELj100EEvPKT0_PS1_.has_recursion, 0
	.set _Z6kernelI2upiLj256ELj3ELj100EEvPKT0_PS1_.has_indirect_call, 0
	.section	.AMDGPU.csdata,"",@progbits
; Kernel info:
; codeLenInByte = 280
; TotalNumSgprs: 11
; NumVgprs: 16
; ScratchSize: 0
; MemoryBound: 0
; FloatMode: 240
; IeeeMode: 1
; LDSByteSize: 1024 bytes/workgroup (compile time only)
; SGPRBlocks: 1
; VGPRBlocks: 3
; NumSGPRsForWavesPerEU: 11
; NumVGPRsForWavesPerEU: 16
; Occupancy: 10
; WaveLimiterHint : 0
; COMPUTE_PGM_RSRC2:SCRATCH_EN: 0
; COMPUTE_PGM_RSRC2:USER_SGPR: 6
; COMPUTE_PGM_RSRC2:TRAP_HANDLER: 0
; COMPUTE_PGM_RSRC2:TGID_X_EN: 1
; COMPUTE_PGM_RSRC2:TGID_Y_EN: 0
; COMPUTE_PGM_RSRC2:TGID_Z_EN: 0
; COMPUTE_PGM_RSRC2:TIDIG_COMP_CNT: 0
	.section	.text._Z6kernelI2upiLj256ELj4ELj100EEvPKT0_PS1_,"axG",@progbits,_Z6kernelI2upiLj256ELj4ELj100EEvPKT0_PS1_,comdat
	.protected	_Z6kernelI2upiLj256ELj4ELj100EEvPKT0_PS1_ ; -- Begin function _Z6kernelI2upiLj256ELj4ELj100EEvPKT0_PS1_
	.globl	_Z6kernelI2upiLj256ELj4ELj100EEvPKT0_PS1_
	.p2align	8
	.type	_Z6kernelI2upiLj256ELj4ELj100EEvPKT0_PS1_,@function
_Z6kernelI2upiLj256ELj4ELj100EEvPKT0_PS1_: ; @_Z6kernelI2upiLj256ELj4ELj100EEvPKT0_PS1_
; %bb.0:
	s_load_dwordx4 s[0:3], s[4:5], 0x0
	v_lshlrev_b32_e32 v7, 2, v0
	v_lshl_or_b32 v1, s6, 10, v7
	v_mov_b32_e32 v2, 0
	v_lshlrev_b64 v[5:6], 2, v[1:2]
	s_waitcnt lgkmcnt(0)
	v_mov_b32_e32 v2, s1
	v_add_co_u32_e32 v1, vcc, s0, v5
	v_addc_co_u32_e32 v2, vcc, v2, v6, vcc
	global_load_dwordx4 v[1:4], v[1:2], off
	v_cmp_ne_u32_e32 vcc, 0, v0
	v_add_u32_e32 v8, -4, v7
	s_movk_i32 s4, 0x64
.LBB16_1:                               ; =>This Inner Loop Header: Depth=1
	s_waitcnt vmcnt(0)
	v_mov_b32_e32 v0, v3
	v_mov_b32_e32 v3, v2
	;; [unrolled: 1-line block ×3, first 2 shown]
	ds_write_b32 v7, v4
	s_waitcnt lgkmcnt(0)
	s_barrier
	s_and_saveexec_b64 s[0:1], vcc
; %bb.2:                                ;   in Loop: Header=BB16_1 Depth=1
	ds_read_b32 v1, v8
; %bb.3:                                ;   in Loop: Header=BB16_1 Depth=1
	s_or_b64 exec, exec, s[0:1]
	s_add_i32 s4, s4, -1
	s_cmp_lg_u32 s4, 0
	s_waitcnt lgkmcnt(0)
	s_barrier
	s_cbranch_scc0 .LBB16_5
; %bb.4:                                ;   in Loop: Header=BB16_1 Depth=1
	v_mov_b32_e32 v4, v0
	s_branch .LBB16_1
.LBB16_5:
	v_mov_b32_e32 v4, s3
	v_add_co_u32_e32 v5, vcc, s2, v5
	v_addc_co_u32_e32 v6, vcc, v4, v6, vcc
	v_mov_b32_e32 v4, v0
	global_store_dwordx4 v[5:6], v[1:4], off
	s_endpgm
	.section	.rodata,"a",@progbits
	.p2align	6, 0x0
	.amdhsa_kernel _Z6kernelI2upiLj256ELj4ELj100EEvPKT0_PS1_
		.amdhsa_group_segment_fixed_size 1024
		.amdhsa_private_segment_fixed_size 0
		.amdhsa_kernarg_size 16
		.amdhsa_user_sgpr_count 6
		.amdhsa_user_sgpr_private_segment_buffer 1
		.amdhsa_user_sgpr_dispatch_ptr 0
		.amdhsa_user_sgpr_queue_ptr 0
		.amdhsa_user_sgpr_kernarg_segment_ptr 1
		.amdhsa_user_sgpr_dispatch_id 0
		.amdhsa_user_sgpr_flat_scratch_init 0
		.amdhsa_user_sgpr_private_segment_size 0
		.amdhsa_uses_dynamic_stack 0
		.amdhsa_system_sgpr_private_segment_wavefront_offset 0
		.amdhsa_system_sgpr_workgroup_id_x 1
		.amdhsa_system_sgpr_workgroup_id_y 0
		.amdhsa_system_sgpr_workgroup_id_z 0
		.amdhsa_system_sgpr_workgroup_info 0
		.amdhsa_system_vgpr_workitem_id 0
		.amdhsa_next_free_vgpr 9
		.amdhsa_next_free_sgpr 7
		.amdhsa_reserve_vcc 1
		.amdhsa_reserve_flat_scratch 0
		.amdhsa_float_round_mode_32 0
		.amdhsa_float_round_mode_16_64 0
		.amdhsa_float_denorm_mode_32 3
		.amdhsa_float_denorm_mode_16_64 3
		.amdhsa_dx10_clamp 1
		.amdhsa_ieee_mode 1
		.amdhsa_fp16_overflow 0
		.amdhsa_exception_fp_ieee_invalid_op 0
		.amdhsa_exception_fp_denorm_src 0
		.amdhsa_exception_fp_ieee_div_zero 0
		.amdhsa_exception_fp_ieee_overflow 0
		.amdhsa_exception_fp_ieee_underflow 0
		.amdhsa_exception_fp_ieee_inexact 0
		.amdhsa_exception_int_div_zero 0
	.end_amdhsa_kernel
	.section	.text._Z6kernelI2upiLj256ELj4ELj100EEvPKT0_PS1_,"axG",@progbits,_Z6kernelI2upiLj256ELj4ELj100EEvPKT0_PS1_,comdat
.Lfunc_end16:
	.size	_Z6kernelI2upiLj256ELj4ELj100EEvPKT0_PS1_, .Lfunc_end16-_Z6kernelI2upiLj256ELj4ELj100EEvPKT0_PS1_
                                        ; -- End function
	.set _Z6kernelI2upiLj256ELj4ELj100EEvPKT0_PS1_.num_vgpr, 9
	.set _Z6kernelI2upiLj256ELj4ELj100EEvPKT0_PS1_.num_agpr, 0
	.set _Z6kernelI2upiLj256ELj4ELj100EEvPKT0_PS1_.numbered_sgpr, 7
	.set _Z6kernelI2upiLj256ELj4ELj100EEvPKT0_PS1_.num_named_barrier, 0
	.set _Z6kernelI2upiLj256ELj4ELj100EEvPKT0_PS1_.private_seg_size, 0
	.set _Z6kernelI2upiLj256ELj4ELj100EEvPKT0_PS1_.uses_vcc, 1
	.set _Z6kernelI2upiLj256ELj4ELj100EEvPKT0_PS1_.uses_flat_scratch, 0
	.set _Z6kernelI2upiLj256ELj4ELj100EEvPKT0_PS1_.has_dyn_sized_stack, 0
	.set _Z6kernelI2upiLj256ELj4ELj100EEvPKT0_PS1_.has_recursion, 0
	.set _Z6kernelI2upiLj256ELj4ELj100EEvPKT0_PS1_.has_indirect_call, 0
	.section	.AMDGPU.csdata,"",@progbits
; Kernel info:
; codeLenInByte = 172
; TotalNumSgprs: 11
; NumVgprs: 9
; ScratchSize: 0
; MemoryBound: 0
; FloatMode: 240
; IeeeMode: 1
; LDSByteSize: 1024 bytes/workgroup (compile time only)
; SGPRBlocks: 1
; VGPRBlocks: 2
; NumSGPRsForWavesPerEU: 11
; NumVGPRsForWavesPerEU: 9
; Occupancy: 10
; WaveLimiterHint : 0
; COMPUTE_PGM_RSRC2:SCRATCH_EN: 0
; COMPUTE_PGM_RSRC2:USER_SGPR: 6
; COMPUTE_PGM_RSRC2:TRAP_HANDLER: 0
; COMPUTE_PGM_RSRC2:TGID_X_EN: 1
; COMPUTE_PGM_RSRC2:TGID_Y_EN: 0
; COMPUTE_PGM_RSRC2:TGID_Z_EN: 0
; COMPUTE_PGM_RSRC2:TIDIG_COMP_CNT: 0
	.section	.text._Z6kernelI2upiLj256ELj8ELj100EEvPKT0_PS1_,"axG",@progbits,_Z6kernelI2upiLj256ELj8ELj100EEvPKT0_PS1_,comdat
	.protected	_Z6kernelI2upiLj256ELj8ELj100EEvPKT0_PS1_ ; -- Begin function _Z6kernelI2upiLj256ELj8ELj100EEvPKT0_PS1_
	.globl	_Z6kernelI2upiLj256ELj8ELj100EEvPKT0_PS1_
	.p2align	8
	.type	_Z6kernelI2upiLj256ELj8ELj100EEvPKT0_PS1_,@function
_Z6kernelI2upiLj256ELj8ELj100EEvPKT0_PS1_: ; @_Z6kernelI2upiLj256ELj8ELj100EEvPKT0_PS1_
; %bb.0:
	s_load_dwordx4 s[0:3], s[4:5], 0x0
	v_lshlrev_b32_e32 v1, 3, v0
	v_lshl_or_b32 v1, s6, 11, v1
	v_mov_b32_e32 v2, 0
	v_lshlrev_b64 v[9:10], 2, v[1:2]
	s_waitcnt lgkmcnt(0)
	v_mov_b32_e32 v1, s1
	v_add_co_u32_e32 v11, vcc, s0, v9
	v_addc_co_u32_e32 v12, vcc, v1, v10, vcc
	global_load_dwordx4 v[5:8], v[11:12], off
	global_load_dwordx4 v[1:4], v[11:12], off offset:16
	v_lshlrev_b32_e32 v11, 2, v0
	v_cmp_ne_u32_e32 vcc, 0, v0
	v_add_u32_e32 v12, -4, v11
	s_movk_i32 s4, 0x64
.LBB17_1:                               ; =>This Inner Loop Header: Depth=1
	s_waitcnt vmcnt(0)
	v_mov_b32_e32 v0, v3
	v_mov_b32_e32 v3, v2
	;; [unrolled: 1-line block ×7, first 2 shown]
	ds_write_b32 v11, v4
	s_waitcnt lgkmcnt(0)
	s_barrier
	s_and_saveexec_b64 s[0:1], vcc
; %bb.2:                                ;   in Loop: Header=BB17_1 Depth=1
	ds_read_b32 v5, v12
; %bb.3:                                ;   in Loop: Header=BB17_1 Depth=1
	s_or_b64 exec, exec, s[0:1]
	s_add_i32 s4, s4, -1
	s_cmp_lg_u32 s4, 0
	s_waitcnt lgkmcnt(0)
	s_barrier
	s_cbranch_scc0 .LBB17_5
; %bb.4:                                ;   in Loop: Header=BB17_1 Depth=1
	v_mov_b32_e32 v4, v0
	s_branch .LBB17_1
.LBB17_5:
	v_mov_b32_e32 v4, s3
	v_add_co_u32_e32 v9, vcc, s2, v9
	v_addc_co_u32_e32 v10, vcc, v4, v10, vcc
	v_mov_b32_e32 v4, v0
	global_store_dwordx4 v[9:10], v[5:8], off
	global_store_dwordx4 v[9:10], v[1:4], off offset:16
	s_endpgm
	.section	.rodata,"a",@progbits
	.p2align	6, 0x0
	.amdhsa_kernel _Z6kernelI2upiLj256ELj8ELj100EEvPKT0_PS1_
		.amdhsa_group_segment_fixed_size 1024
		.amdhsa_private_segment_fixed_size 0
		.amdhsa_kernarg_size 16
		.amdhsa_user_sgpr_count 6
		.amdhsa_user_sgpr_private_segment_buffer 1
		.amdhsa_user_sgpr_dispatch_ptr 0
		.amdhsa_user_sgpr_queue_ptr 0
		.amdhsa_user_sgpr_kernarg_segment_ptr 1
		.amdhsa_user_sgpr_dispatch_id 0
		.amdhsa_user_sgpr_flat_scratch_init 0
		.amdhsa_user_sgpr_private_segment_size 0
		.amdhsa_uses_dynamic_stack 0
		.amdhsa_system_sgpr_private_segment_wavefront_offset 0
		.amdhsa_system_sgpr_workgroup_id_x 1
		.amdhsa_system_sgpr_workgroup_id_y 0
		.amdhsa_system_sgpr_workgroup_id_z 0
		.amdhsa_system_sgpr_workgroup_info 0
		.amdhsa_system_vgpr_workitem_id 0
		.amdhsa_next_free_vgpr 13
		.amdhsa_next_free_sgpr 7
		.amdhsa_reserve_vcc 1
		.amdhsa_reserve_flat_scratch 0
		.amdhsa_float_round_mode_32 0
		.amdhsa_float_round_mode_16_64 0
		.amdhsa_float_denorm_mode_32 3
		.amdhsa_float_denorm_mode_16_64 3
		.amdhsa_dx10_clamp 1
		.amdhsa_ieee_mode 1
		.amdhsa_fp16_overflow 0
		.amdhsa_exception_fp_ieee_invalid_op 0
		.amdhsa_exception_fp_denorm_src 0
		.amdhsa_exception_fp_ieee_div_zero 0
		.amdhsa_exception_fp_ieee_overflow 0
		.amdhsa_exception_fp_ieee_underflow 0
		.amdhsa_exception_fp_ieee_inexact 0
		.amdhsa_exception_int_div_zero 0
	.end_amdhsa_kernel
	.section	.text._Z6kernelI2upiLj256ELj8ELj100EEvPKT0_PS1_,"axG",@progbits,_Z6kernelI2upiLj256ELj8ELj100EEvPKT0_PS1_,comdat
.Lfunc_end17:
	.size	_Z6kernelI2upiLj256ELj8ELj100EEvPKT0_PS1_, .Lfunc_end17-_Z6kernelI2upiLj256ELj8ELj100EEvPKT0_PS1_
                                        ; -- End function
	.set _Z6kernelI2upiLj256ELj8ELj100EEvPKT0_PS1_.num_vgpr, 13
	.set _Z6kernelI2upiLj256ELj8ELj100EEvPKT0_PS1_.num_agpr, 0
	.set _Z6kernelI2upiLj256ELj8ELj100EEvPKT0_PS1_.numbered_sgpr, 7
	.set _Z6kernelI2upiLj256ELj8ELj100EEvPKT0_PS1_.num_named_barrier, 0
	.set _Z6kernelI2upiLj256ELj8ELj100EEvPKT0_PS1_.private_seg_size, 0
	.set _Z6kernelI2upiLj256ELj8ELj100EEvPKT0_PS1_.uses_vcc, 1
	.set _Z6kernelI2upiLj256ELj8ELj100EEvPKT0_PS1_.uses_flat_scratch, 0
	.set _Z6kernelI2upiLj256ELj8ELj100EEvPKT0_PS1_.has_dyn_sized_stack, 0
	.set _Z6kernelI2upiLj256ELj8ELj100EEvPKT0_PS1_.has_recursion, 0
	.set _Z6kernelI2upiLj256ELj8ELj100EEvPKT0_PS1_.has_indirect_call, 0
	.section	.AMDGPU.csdata,"",@progbits
; Kernel info:
; codeLenInByte = 208
; TotalNumSgprs: 11
; NumVgprs: 13
; ScratchSize: 0
; MemoryBound: 0
; FloatMode: 240
; IeeeMode: 1
; LDSByteSize: 1024 bytes/workgroup (compile time only)
; SGPRBlocks: 1
; VGPRBlocks: 3
; NumSGPRsForWavesPerEU: 11
; NumVGPRsForWavesPerEU: 13
; Occupancy: 10
; WaveLimiterHint : 0
; COMPUTE_PGM_RSRC2:SCRATCH_EN: 0
; COMPUTE_PGM_RSRC2:USER_SGPR: 6
; COMPUTE_PGM_RSRC2:TRAP_HANDLER: 0
; COMPUTE_PGM_RSRC2:TGID_X_EN: 1
; COMPUTE_PGM_RSRC2:TGID_Y_EN: 0
; COMPUTE_PGM_RSRC2:TGID_Z_EN: 0
; COMPUTE_PGM_RSRC2:TIDIG_COMP_CNT: 0
	.section	.text._Z6kernelI2upiLj256ELj16ELj100EEvPKT0_PS1_,"axG",@progbits,_Z6kernelI2upiLj256ELj16ELj100EEvPKT0_PS1_,comdat
	.protected	_Z6kernelI2upiLj256ELj16ELj100EEvPKT0_PS1_ ; -- Begin function _Z6kernelI2upiLj256ELj16ELj100EEvPKT0_PS1_
	.globl	_Z6kernelI2upiLj256ELj16ELj100EEvPKT0_PS1_
	.p2align	8
	.type	_Z6kernelI2upiLj256ELj16ELj100EEvPKT0_PS1_,@function
_Z6kernelI2upiLj256ELj16ELj100EEvPKT0_PS1_: ; @_Z6kernelI2upiLj256ELj16ELj100EEvPKT0_PS1_
; %bb.0:
	s_load_dwordx4 s[0:3], s[4:5], 0x0
	v_lshlrev_b32_e32 v1, 4, v0
	v_lshl_or_b32 v1, s6, 12, v1
	v_mov_b32_e32 v2, 0
	v_lshlrev_b64 v[17:18], 2, v[1:2]
	s_waitcnt lgkmcnt(0)
	v_mov_b32_e32 v1, s1
	v_add_co_u32_e32 v19, vcc, s0, v17
	v_addc_co_u32_e32 v20, vcc, v1, v18, vcc
	global_load_dwordx4 v[1:4], v[19:20], off
	global_load_dwordx4 v[5:8], v[19:20], off offset:16
	global_load_dwordx4 v[9:12], v[19:20], off offset:32
	;; [unrolled: 1-line block ×3, first 2 shown]
	v_lshlrev_b32_e32 v19, 2, v0
	v_cmp_ne_u32_e32 vcc, 0, v0
	v_add_u32_e32 v20, -4, v19
	s_movk_i32 s4, 0x64
.LBB18_1:                               ; =>This Inner Loop Header: Depth=1
	s_waitcnt vmcnt(3)
	v_mov_b32_e32 v0, v1
	s_waitcnt vmcnt(0)
	ds_write_b32 v19, v16
	s_waitcnt lgkmcnt(0)
	s_barrier
	s_and_saveexec_b64 s[0:1], vcc
; %bb.2:                                ;   in Loop: Header=BB18_1 Depth=1
	ds_read_b32 v0, v20
; %bb.3:                                ;   in Loop: Header=BB18_1 Depth=1
	s_or_b64 exec, exec, s[0:1]
	s_add_i32 s4, s4, -1
	s_cmp_lg_u32 s4, 0
	s_waitcnt lgkmcnt(0)
	s_barrier
	s_cbranch_scc0 .LBB18_5
; %bb.4:                                ;   in Loop: Header=BB18_1 Depth=1
	v_mov_b32_e32 v16, v15
	v_mov_b32_e32 v15, v14
	;; [unrolled: 1-line block ×16, first 2 shown]
	s_branch .LBB18_1
.LBB18_5:
	v_mov_b32_e32 v19, s3
	v_add_co_u32_e32 v16, vcc, s2, v17
	v_addc_co_u32_e32 v17, vcc, v19, v18, vcc
	global_store_dwordx4 v[16:17], v[0:3], off
	s_nop 0
	v_mov_b32_e32 v0, v4
	v_mov_b32_e32 v1, v5
	v_mov_b32_e32 v2, v6
	v_mov_b32_e32 v3, v7
	global_store_dwordx4 v[16:17], v[0:3], off offset:16
	s_nop 0
	v_mov_b32_e32 v0, v8
	v_mov_b32_e32 v1, v9
	v_mov_b32_e32 v2, v10
	v_mov_b32_e32 v3, v11
	global_store_dwordx4 v[16:17], v[0:3], off offset:32
	;; [unrolled: 6-line block ×3, first 2 shown]
	s_endpgm
	.section	.rodata,"a",@progbits
	.p2align	6, 0x0
	.amdhsa_kernel _Z6kernelI2upiLj256ELj16ELj100EEvPKT0_PS1_
		.amdhsa_group_segment_fixed_size 1024
		.amdhsa_private_segment_fixed_size 0
		.amdhsa_kernarg_size 16
		.amdhsa_user_sgpr_count 6
		.amdhsa_user_sgpr_private_segment_buffer 1
		.amdhsa_user_sgpr_dispatch_ptr 0
		.amdhsa_user_sgpr_queue_ptr 0
		.amdhsa_user_sgpr_kernarg_segment_ptr 1
		.amdhsa_user_sgpr_dispatch_id 0
		.amdhsa_user_sgpr_flat_scratch_init 0
		.amdhsa_user_sgpr_private_segment_size 0
		.amdhsa_uses_dynamic_stack 0
		.amdhsa_system_sgpr_private_segment_wavefront_offset 0
		.amdhsa_system_sgpr_workgroup_id_x 1
		.amdhsa_system_sgpr_workgroup_id_y 0
		.amdhsa_system_sgpr_workgroup_id_z 0
		.amdhsa_system_sgpr_workgroup_info 0
		.amdhsa_system_vgpr_workitem_id 0
		.amdhsa_next_free_vgpr 21
		.amdhsa_next_free_sgpr 7
		.amdhsa_reserve_vcc 1
		.amdhsa_reserve_flat_scratch 0
		.amdhsa_float_round_mode_32 0
		.amdhsa_float_round_mode_16_64 0
		.amdhsa_float_denorm_mode_32 3
		.amdhsa_float_denorm_mode_16_64 3
		.amdhsa_dx10_clamp 1
		.amdhsa_ieee_mode 1
		.amdhsa_fp16_overflow 0
		.amdhsa_exception_fp_ieee_invalid_op 0
		.amdhsa_exception_fp_denorm_src 0
		.amdhsa_exception_fp_ieee_div_zero 0
		.amdhsa_exception_fp_ieee_overflow 0
		.amdhsa_exception_fp_ieee_underflow 0
		.amdhsa_exception_fp_ieee_inexact 0
		.amdhsa_exception_int_div_zero 0
	.end_amdhsa_kernel
	.section	.text._Z6kernelI2upiLj256ELj16ELj100EEvPKT0_PS1_,"axG",@progbits,_Z6kernelI2upiLj256ELj16ELj100EEvPKT0_PS1_,comdat
.Lfunc_end18:
	.size	_Z6kernelI2upiLj256ELj16ELj100EEvPKT0_PS1_, .Lfunc_end18-_Z6kernelI2upiLj256ELj16ELj100EEvPKT0_PS1_
                                        ; -- End function
	.set _Z6kernelI2upiLj256ELj16ELj100EEvPKT0_PS1_.num_vgpr, 21
	.set _Z6kernelI2upiLj256ELj16ELj100EEvPKT0_PS1_.num_agpr, 0
	.set _Z6kernelI2upiLj256ELj16ELj100EEvPKT0_PS1_.numbered_sgpr, 7
	.set _Z6kernelI2upiLj256ELj16ELj100EEvPKT0_PS1_.num_named_barrier, 0
	.set _Z6kernelI2upiLj256ELj16ELj100EEvPKT0_PS1_.private_seg_size, 0
	.set _Z6kernelI2upiLj256ELj16ELj100EEvPKT0_PS1_.uses_vcc, 1
	.set _Z6kernelI2upiLj256ELj16ELj100EEvPKT0_PS1_.uses_flat_scratch, 0
	.set _Z6kernelI2upiLj256ELj16ELj100EEvPKT0_PS1_.has_dyn_sized_stack, 0
	.set _Z6kernelI2upiLj256ELj16ELj100EEvPKT0_PS1_.has_recursion, 0
	.set _Z6kernelI2upiLj256ELj16ELj100EEvPKT0_PS1_.has_indirect_call, 0
	.section	.AMDGPU.csdata,"",@progbits
; Kernel info:
; codeLenInByte = 336
; TotalNumSgprs: 11
; NumVgprs: 21
; ScratchSize: 0
; MemoryBound: 0
; FloatMode: 240
; IeeeMode: 1
; LDSByteSize: 1024 bytes/workgroup (compile time only)
; SGPRBlocks: 1
; VGPRBlocks: 5
; NumSGPRsForWavesPerEU: 11
; NumVGPRsForWavesPerEU: 21
; Occupancy: 10
; WaveLimiterHint : 0
; COMPUTE_PGM_RSRC2:SCRATCH_EN: 0
; COMPUTE_PGM_RSRC2:USER_SGPR: 6
; COMPUTE_PGM_RSRC2:TRAP_HANDLER: 0
; COMPUTE_PGM_RSRC2:TGID_X_EN: 1
; COMPUTE_PGM_RSRC2:TGID_Y_EN: 0
; COMPUTE_PGM_RSRC2:TGID_Z_EN: 0
; COMPUTE_PGM_RSRC2:TIDIG_COMP_CNT: 0
	.section	.text._Z6kernelI2upiLj256ELj32ELj100EEvPKT0_PS1_,"axG",@progbits,_Z6kernelI2upiLj256ELj32ELj100EEvPKT0_PS1_,comdat
	.protected	_Z6kernelI2upiLj256ELj32ELj100EEvPKT0_PS1_ ; -- Begin function _Z6kernelI2upiLj256ELj32ELj100EEvPKT0_PS1_
	.globl	_Z6kernelI2upiLj256ELj32ELj100EEvPKT0_PS1_
	.p2align	8
	.type	_Z6kernelI2upiLj256ELj32ELj100EEvPKT0_PS1_,@function
_Z6kernelI2upiLj256ELj32ELj100EEvPKT0_PS1_: ; @_Z6kernelI2upiLj256ELj32ELj100EEvPKT0_PS1_
; %bb.0:
	s_load_dwordx4 s[0:3], s[4:5], 0x0
	v_lshlrev_b32_e32 v1, 5, v0
	v_lshl_or_b32 v1, s6, 13, v1
	v_mov_b32_e32 v2, 0
	v_lshlrev_b64 v[33:34], 2, v[1:2]
	s_waitcnt lgkmcnt(0)
	v_mov_b32_e32 v1, s1
	v_add_co_u32_e32 v35, vcc, s0, v33
	v_addc_co_u32_e32 v36, vcc, v1, v34, vcc
	global_load_dwordx4 v[1:4], v[35:36], off
	global_load_dwordx4 v[5:8], v[35:36], off offset:16
	global_load_dwordx4 v[29:32], v[35:36], off offset:32
	;; [unrolled: 1-line block ×7, first 2 shown]
	v_lshlrev_b32_e32 v35, 2, v0
	v_cmp_ne_u32_e32 vcc, 0, v0
	s_movk_i32 s4, 0x64
	v_add_u32_e32 v36, -4, v35
.LBB19_1:                               ; =>This Inner Loop Header: Depth=1
	s_waitcnt vmcnt(7)
	v_mov_b32_e32 v0, v1
	s_waitcnt vmcnt(0)
	ds_write_b32 v35, v12
	s_waitcnt lgkmcnt(0)
	s_barrier
	s_and_saveexec_b64 s[0:1], vcc
; %bb.2:                                ;   in Loop: Header=BB19_1 Depth=1
	ds_read_b32 v0, v36
; %bb.3:                                ;   in Loop: Header=BB19_1 Depth=1
	s_or_b64 exec, exec, s[0:1]
	s_add_i32 s4, s4, -1
	s_cmp_lg_u32 s4, 0
	s_waitcnt lgkmcnt(0)
	s_barrier
	s_cbranch_scc0 .LBB19_5
; %bb.4:                                ;   in Loop: Header=BB19_1 Depth=1
	v_mov_b32_e32 v12, v11
	v_mov_b32_e32 v11, v10
	;; [unrolled: 1-line block ×32, first 2 shown]
	s_branch .LBB19_1
.LBB19_5:
	v_mov_b32_e32 v12, s3
	v_add_co_u32_e32 v33, vcc, s2, v33
	v_addc_co_u32_e32 v34, vcc, v12, v34, vcc
	global_store_dwordx4 v[33:34], v[0:3], off
	s_nop 0
	v_mov_b32_e32 v0, v4
	v_mov_b32_e32 v1, v5
	v_mov_b32_e32 v2, v6
	v_mov_b32_e32 v3, v7
	global_store_dwordx4 v[33:34], v[0:3], off offset:16
	s_nop 0
	v_mov_b32_e32 v0, v8
	v_mov_b32_e32 v1, v29
	v_mov_b32_e32 v2, v30
	v_mov_b32_e32 v3, v31
	global_store_dwordx4 v[33:34], v[0:3], off offset:32
	;; [unrolled: 6-line block ×7, first 2 shown]
	s_endpgm
	.section	.rodata,"a",@progbits
	.p2align	6, 0x0
	.amdhsa_kernel _Z6kernelI2upiLj256ELj32ELj100EEvPKT0_PS1_
		.amdhsa_group_segment_fixed_size 1024
		.amdhsa_private_segment_fixed_size 0
		.amdhsa_kernarg_size 16
		.amdhsa_user_sgpr_count 6
		.amdhsa_user_sgpr_private_segment_buffer 1
		.amdhsa_user_sgpr_dispatch_ptr 0
		.amdhsa_user_sgpr_queue_ptr 0
		.amdhsa_user_sgpr_kernarg_segment_ptr 1
		.amdhsa_user_sgpr_dispatch_id 0
		.amdhsa_user_sgpr_flat_scratch_init 0
		.amdhsa_user_sgpr_private_segment_size 0
		.amdhsa_uses_dynamic_stack 0
		.amdhsa_system_sgpr_private_segment_wavefront_offset 0
		.amdhsa_system_sgpr_workgroup_id_x 1
		.amdhsa_system_sgpr_workgroup_id_y 0
		.amdhsa_system_sgpr_workgroup_id_z 0
		.amdhsa_system_sgpr_workgroup_info 0
		.amdhsa_system_vgpr_workitem_id 0
		.amdhsa_next_free_vgpr 37
		.amdhsa_next_free_sgpr 7
		.amdhsa_reserve_vcc 1
		.amdhsa_reserve_flat_scratch 0
		.amdhsa_float_round_mode_32 0
		.amdhsa_float_round_mode_16_64 0
		.amdhsa_float_denorm_mode_32 3
		.amdhsa_float_denorm_mode_16_64 3
		.amdhsa_dx10_clamp 1
		.amdhsa_ieee_mode 1
		.amdhsa_fp16_overflow 0
		.amdhsa_exception_fp_ieee_invalid_op 0
		.amdhsa_exception_fp_denorm_src 0
		.amdhsa_exception_fp_ieee_div_zero 0
		.amdhsa_exception_fp_ieee_overflow 0
		.amdhsa_exception_fp_ieee_underflow 0
		.amdhsa_exception_fp_ieee_inexact 0
		.amdhsa_exception_int_div_zero 0
	.end_amdhsa_kernel
	.section	.text._Z6kernelI2upiLj256ELj32ELj100EEvPKT0_PS1_,"axG",@progbits,_Z6kernelI2upiLj256ELj32ELj100EEvPKT0_PS1_,comdat
.Lfunc_end19:
	.size	_Z6kernelI2upiLj256ELj32ELj100EEvPKT0_PS1_, .Lfunc_end19-_Z6kernelI2upiLj256ELj32ELj100EEvPKT0_PS1_
                                        ; -- End function
	.set _Z6kernelI2upiLj256ELj32ELj100EEvPKT0_PS1_.num_vgpr, 37
	.set _Z6kernelI2upiLj256ELj32ELj100EEvPKT0_PS1_.num_agpr, 0
	.set _Z6kernelI2upiLj256ELj32ELj100EEvPKT0_PS1_.numbered_sgpr, 7
	.set _Z6kernelI2upiLj256ELj32ELj100EEvPKT0_PS1_.num_named_barrier, 0
	.set _Z6kernelI2upiLj256ELj32ELj100EEvPKT0_PS1_.private_seg_size, 0
	.set _Z6kernelI2upiLj256ELj32ELj100EEvPKT0_PS1_.uses_vcc, 1
	.set _Z6kernelI2upiLj256ELj32ELj100EEvPKT0_PS1_.uses_flat_scratch, 0
	.set _Z6kernelI2upiLj256ELj32ELj100EEvPKT0_PS1_.has_dyn_sized_stack, 0
	.set _Z6kernelI2upiLj256ELj32ELj100EEvPKT0_PS1_.has_recursion, 0
	.set _Z6kernelI2upiLj256ELj32ELj100EEvPKT0_PS1_.has_indirect_call, 0
	.section	.AMDGPU.csdata,"",@progbits
; Kernel info:
; codeLenInByte = 544
; TotalNumSgprs: 11
; NumVgprs: 37
; ScratchSize: 0
; MemoryBound: 1
; FloatMode: 240
; IeeeMode: 1
; LDSByteSize: 1024 bytes/workgroup (compile time only)
; SGPRBlocks: 1
; VGPRBlocks: 9
; NumSGPRsForWavesPerEU: 11
; NumVGPRsForWavesPerEU: 37
; Occupancy: 6
; WaveLimiterHint : 0
; COMPUTE_PGM_RSRC2:SCRATCH_EN: 0
; COMPUTE_PGM_RSRC2:USER_SGPR: 6
; COMPUTE_PGM_RSRC2:TRAP_HANDLER: 0
; COMPUTE_PGM_RSRC2:TGID_X_EN: 1
; COMPUTE_PGM_RSRC2:TGID_Y_EN: 0
; COMPUTE_PGM_RSRC2:TGID_Z_EN: 0
; COMPUTE_PGM_RSRC2:TIDIG_COMP_CNT: 0
	.section	.text._Z6kernelI2upfLj256ELj1ELj100EEvPKT0_PS1_,"axG",@progbits,_Z6kernelI2upfLj256ELj1ELj100EEvPKT0_PS1_,comdat
	.protected	_Z6kernelI2upfLj256ELj1ELj100EEvPKT0_PS1_ ; -- Begin function _Z6kernelI2upfLj256ELj1ELj100EEvPKT0_PS1_
	.globl	_Z6kernelI2upfLj256ELj1ELj100EEvPKT0_PS1_
	.p2align	8
	.type	_Z6kernelI2upfLj256ELj1ELj100EEvPKT0_PS1_,@function
_Z6kernelI2upfLj256ELj1ELj100EEvPKT0_PS1_: ; @_Z6kernelI2upfLj256ELj1ELj100EEvPKT0_PS1_
; %bb.0:
	s_load_dwordx4 s[0:3], s[4:5], 0x0
	v_lshl_or_b32 v1, s6, 8, v0
	v_mov_b32_e32 v2, 0
	v_lshlrev_b64 v[1:2], 2, v[1:2]
	s_movk_i32 s4, 0x64
	s_waitcnt lgkmcnt(0)
	v_mov_b32_e32 v4, s1
	v_add_co_u32_e32 v3, vcc, s0, v1
	v_addc_co_u32_e32 v4, vcc, v4, v2, vcc
	global_load_dword v3, v[3:4], off
	v_lshlrev_b32_e32 v4, 2, v0
	v_cmp_ne_u32_e32 vcc, 0, v0
	v_add_u32_e32 v0, -4, v4
	s_branch .LBB20_2
.LBB20_1:                               ;   in Loop: Header=BB20_2 Depth=1
	s_or_b64 exec, exec, s[0:1]
	s_add_i32 s4, s4, -1
	s_cmp_lg_u32 s4, 0
	s_waitcnt lgkmcnt(0)
	s_barrier
	s_cbranch_scc0 .LBB20_4
.LBB20_2:                               ; =>This Inner Loop Header: Depth=1
	s_waitcnt vmcnt(0)
	ds_write_b32 v4, v3
	s_waitcnt lgkmcnt(0)
	s_barrier
	s_and_saveexec_b64 s[0:1], vcc
	s_cbranch_execz .LBB20_1
; %bb.3:                                ;   in Loop: Header=BB20_2 Depth=1
	ds_read_b32 v3, v0
	s_branch .LBB20_1
.LBB20_4:
	v_mov_b32_e32 v4, s3
	v_add_co_u32_e32 v0, vcc, s2, v1
	v_addc_co_u32_e32 v1, vcc, v4, v2, vcc
	global_store_dword v[0:1], v3, off
	s_endpgm
	.section	.rodata,"a",@progbits
	.p2align	6, 0x0
	.amdhsa_kernel _Z6kernelI2upfLj256ELj1ELj100EEvPKT0_PS1_
		.amdhsa_group_segment_fixed_size 1024
		.amdhsa_private_segment_fixed_size 0
		.amdhsa_kernarg_size 16
		.amdhsa_user_sgpr_count 6
		.amdhsa_user_sgpr_private_segment_buffer 1
		.amdhsa_user_sgpr_dispatch_ptr 0
		.amdhsa_user_sgpr_queue_ptr 0
		.amdhsa_user_sgpr_kernarg_segment_ptr 1
		.amdhsa_user_sgpr_dispatch_id 0
		.amdhsa_user_sgpr_flat_scratch_init 0
		.amdhsa_user_sgpr_private_segment_size 0
		.amdhsa_uses_dynamic_stack 0
		.amdhsa_system_sgpr_private_segment_wavefront_offset 0
		.amdhsa_system_sgpr_workgroup_id_x 1
		.amdhsa_system_sgpr_workgroup_id_y 0
		.amdhsa_system_sgpr_workgroup_id_z 0
		.amdhsa_system_sgpr_workgroup_info 0
		.amdhsa_system_vgpr_workitem_id 0
		.amdhsa_next_free_vgpr 5
		.amdhsa_next_free_sgpr 7
		.amdhsa_reserve_vcc 1
		.amdhsa_reserve_flat_scratch 0
		.amdhsa_float_round_mode_32 0
		.amdhsa_float_round_mode_16_64 0
		.amdhsa_float_denorm_mode_32 3
		.amdhsa_float_denorm_mode_16_64 3
		.amdhsa_dx10_clamp 1
		.amdhsa_ieee_mode 1
		.amdhsa_fp16_overflow 0
		.amdhsa_exception_fp_ieee_invalid_op 0
		.amdhsa_exception_fp_denorm_src 0
		.amdhsa_exception_fp_ieee_div_zero 0
		.amdhsa_exception_fp_ieee_overflow 0
		.amdhsa_exception_fp_ieee_underflow 0
		.amdhsa_exception_fp_ieee_inexact 0
		.amdhsa_exception_int_div_zero 0
	.end_amdhsa_kernel
	.section	.text._Z6kernelI2upfLj256ELj1ELj100EEvPKT0_PS1_,"axG",@progbits,_Z6kernelI2upfLj256ELj1ELj100EEvPKT0_PS1_,comdat
.Lfunc_end20:
	.size	_Z6kernelI2upfLj256ELj1ELj100EEvPKT0_PS1_, .Lfunc_end20-_Z6kernelI2upfLj256ELj1ELj100EEvPKT0_PS1_
                                        ; -- End function
	.set _Z6kernelI2upfLj256ELj1ELj100EEvPKT0_PS1_.num_vgpr, 5
	.set _Z6kernelI2upfLj256ELj1ELj100EEvPKT0_PS1_.num_agpr, 0
	.set _Z6kernelI2upfLj256ELj1ELj100EEvPKT0_PS1_.numbered_sgpr, 7
	.set _Z6kernelI2upfLj256ELj1ELj100EEvPKT0_PS1_.num_named_barrier, 0
	.set _Z6kernelI2upfLj256ELj1ELj100EEvPKT0_PS1_.private_seg_size, 0
	.set _Z6kernelI2upfLj256ELj1ELj100EEvPKT0_PS1_.uses_vcc, 1
	.set _Z6kernelI2upfLj256ELj1ELj100EEvPKT0_PS1_.uses_flat_scratch, 0
	.set _Z6kernelI2upfLj256ELj1ELj100EEvPKT0_PS1_.has_dyn_sized_stack, 0
	.set _Z6kernelI2upfLj256ELj1ELj100EEvPKT0_PS1_.has_recursion, 0
	.set _Z6kernelI2upfLj256ELj1ELj100EEvPKT0_PS1_.has_indirect_call, 0
	.section	.AMDGPU.csdata,"",@progbits
; Kernel info:
; codeLenInByte = 160
; TotalNumSgprs: 11
; NumVgprs: 5
; ScratchSize: 0
; MemoryBound: 0
; FloatMode: 240
; IeeeMode: 1
; LDSByteSize: 1024 bytes/workgroup (compile time only)
; SGPRBlocks: 1
; VGPRBlocks: 1
; NumSGPRsForWavesPerEU: 11
; NumVGPRsForWavesPerEU: 5
; Occupancy: 10
; WaveLimiterHint : 0
; COMPUTE_PGM_RSRC2:SCRATCH_EN: 0
; COMPUTE_PGM_RSRC2:USER_SGPR: 6
; COMPUTE_PGM_RSRC2:TRAP_HANDLER: 0
; COMPUTE_PGM_RSRC2:TGID_X_EN: 1
; COMPUTE_PGM_RSRC2:TGID_Y_EN: 0
; COMPUTE_PGM_RSRC2:TGID_Z_EN: 0
; COMPUTE_PGM_RSRC2:TIDIG_COMP_CNT: 0
	.section	.text._Z6kernelI2upfLj256ELj3ELj100EEvPKT0_PS1_,"axG",@progbits,_Z6kernelI2upfLj256ELj3ELj100EEvPKT0_PS1_,comdat
	.protected	_Z6kernelI2upfLj256ELj3ELj100EEvPKT0_PS1_ ; -- Begin function _Z6kernelI2upfLj256ELj3ELj100EEvPKT0_PS1_
	.globl	_Z6kernelI2upfLj256ELj3ELj100EEvPKT0_PS1_
	.p2align	8
	.type	_Z6kernelI2upfLj256ELj3ELj100EEvPKT0_PS1_,@function
_Z6kernelI2upfLj256ELj3ELj100EEvPKT0_PS1_: ; @_Z6kernelI2upfLj256ELj3ELj100EEvPKT0_PS1_
; %bb.0:
	s_load_dwordx4 s[0:3], s[4:5], 0x0
	v_lshl_or_b32 v1, s6, 8, v0
	v_lshl_add_u32 v5, v1, 1, v1
	v_mov_b32_e32 v6, 0
	v_lshlrev_b64 v[1:2], 2, v[5:6]
	s_waitcnt lgkmcnt(0)
	v_mov_b32_e32 v3, s1
	v_add_co_u32_e32 v9, vcc, s0, v1
	v_addc_co_u32_e32 v10, vcc, v3, v2, vcc
	v_add_u32_e32 v3, 1, v5
	v_mov_b32_e32 v4, v6
	v_lshlrev_b64 v[3:4], 2, v[3:4]
	v_add_u32_e32 v5, 2, v5
	v_mov_b32_e32 v7, s1
	v_add_co_u32_e32 v12, vcc, s0, v3
	v_lshlrev_b64 v[5:6], 2, v[5:6]
	v_addc_co_u32_e32 v13, vcc, v7, v4, vcc
	v_add_co_u32_e32 v14, vcc, s0, v5
	v_addc_co_u32_e32 v15, vcc, v7, v6, vcc
	global_load_dword v8, v[9:10], off
	global_load_dword v7, v[12:13], off
	;; [unrolled: 1-line block ×3, first 2 shown]
	v_lshlrev_b32_e32 v9, 2, v0
	v_cmp_ne_u32_e32 vcc, 0, v0
	v_add_u32_e32 v10, -4, v9
	s_movk_i32 s4, 0x64
.LBB21_1:                               ; =>This Inner Loop Header: Depth=1
	s_waitcnt vmcnt(1)
	v_mov_b32_e32 v0, v7
	v_mov_b32_e32 v7, v8
	s_waitcnt vmcnt(0)
	ds_write_b32 v9, v11
	s_waitcnt lgkmcnt(0)
	s_barrier
	s_and_saveexec_b64 s[0:1], vcc
; %bb.2:                                ;   in Loop: Header=BB21_1 Depth=1
	ds_read_b32 v8, v10
; %bb.3:                                ;   in Loop: Header=BB21_1 Depth=1
	s_or_b64 exec, exec, s[0:1]
	s_add_i32 s4, s4, -1
	s_cmp_lg_u32 s4, 0
	s_waitcnt lgkmcnt(0)
	s_barrier
	s_cbranch_scc0 .LBB21_5
; %bb.4:                                ;   in Loop: Header=BB21_1 Depth=1
	v_mov_b32_e32 v11, v0
	s_branch .LBB21_1
.LBB21_5:
	v_mov_b32_e32 v9, s3
	v_add_co_u32_e32 v1, vcc, s2, v1
	v_addc_co_u32_e32 v2, vcc, v9, v2, vcc
	global_store_dword v[1:2], v8, off
	v_mov_b32_e32 v2, s3
	v_add_co_u32_e32 v1, vcc, s2, v3
	v_addc_co_u32_e32 v2, vcc, v2, v4, vcc
	global_store_dword v[1:2], v7, off
	;; [unrolled: 4-line block ×3, first 2 shown]
	s_endpgm
	.section	.rodata,"a",@progbits
	.p2align	6, 0x0
	.amdhsa_kernel _Z6kernelI2upfLj256ELj3ELj100EEvPKT0_PS1_
		.amdhsa_group_segment_fixed_size 1024
		.amdhsa_private_segment_fixed_size 0
		.amdhsa_kernarg_size 16
		.amdhsa_user_sgpr_count 6
		.amdhsa_user_sgpr_private_segment_buffer 1
		.amdhsa_user_sgpr_dispatch_ptr 0
		.amdhsa_user_sgpr_queue_ptr 0
		.amdhsa_user_sgpr_kernarg_segment_ptr 1
		.amdhsa_user_sgpr_dispatch_id 0
		.amdhsa_user_sgpr_flat_scratch_init 0
		.amdhsa_user_sgpr_private_segment_size 0
		.amdhsa_uses_dynamic_stack 0
		.amdhsa_system_sgpr_private_segment_wavefront_offset 0
		.amdhsa_system_sgpr_workgroup_id_x 1
		.amdhsa_system_sgpr_workgroup_id_y 0
		.amdhsa_system_sgpr_workgroup_id_z 0
		.amdhsa_system_sgpr_workgroup_info 0
		.amdhsa_system_vgpr_workitem_id 0
		.amdhsa_next_free_vgpr 16
		.amdhsa_next_free_sgpr 7
		.amdhsa_reserve_vcc 1
		.amdhsa_reserve_flat_scratch 0
		.amdhsa_float_round_mode_32 0
		.amdhsa_float_round_mode_16_64 0
		.amdhsa_float_denorm_mode_32 3
		.amdhsa_float_denorm_mode_16_64 3
		.amdhsa_dx10_clamp 1
		.amdhsa_ieee_mode 1
		.amdhsa_fp16_overflow 0
		.amdhsa_exception_fp_ieee_invalid_op 0
		.amdhsa_exception_fp_denorm_src 0
		.amdhsa_exception_fp_ieee_div_zero 0
		.amdhsa_exception_fp_ieee_overflow 0
		.amdhsa_exception_fp_ieee_underflow 0
		.amdhsa_exception_fp_ieee_inexact 0
		.amdhsa_exception_int_div_zero 0
	.end_amdhsa_kernel
	.section	.text._Z6kernelI2upfLj256ELj3ELj100EEvPKT0_PS1_,"axG",@progbits,_Z6kernelI2upfLj256ELj3ELj100EEvPKT0_PS1_,comdat
.Lfunc_end21:
	.size	_Z6kernelI2upfLj256ELj3ELj100EEvPKT0_PS1_, .Lfunc_end21-_Z6kernelI2upfLj256ELj3ELj100EEvPKT0_PS1_
                                        ; -- End function
	.set _Z6kernelI2upfLj256ELj3ELj100EEvPKT0_PS1_.num_vgpr, 16
	.set _Z6kernelI2upfLj256ELj3ELj100EEvPKT0_PS1_.num_agpr, 0
	.set _Z6kernelI2upfLj256ELj3ELj100EEvPKT0_PS1_.numbered_sgpr, 7
	.set _Z6kernelI2upfLj256ELj3ELj100EEvPKT0_PS1_.num_named_barrier, 0
	.set _Z6kernelI2upfLj256ELj3ELj100EEvPKT0_PS1_.private_seg_size, 0
	.set _Z6kernelI2upfLj256ELj3ELj100EEvPKT0_PS1_.uses_vcc, 1
	.set _Z6kernelI2upfLj256ELj3ELj100EEvPKT0_PS1_.uses_flat_scratch, 0
	.set _Z6kernelI2upfLj256ELj3ELj100EEvPKT0_PS1_.has_dyn_sized_stack, 0
	.set _Z6kernelI2upfLj256ELj3ELj100EEvPKT0_PS1_.has_recursion, 0
	.set _Z6kernelI2upfLj256ELj3ELj100EEvPKT0_PS1_.has_indirect_call, 0
	.section	.AMDGPU.csdata,"",@progbits
; Kernel info:
; codeLenInByte = 280
; TotalNumSgprs: 11
; NumVgprs: 16
; ScratchSize: 0
; MemoryBound: 0
; FloatMode: 240
; IeeeMode: 1
; LDSByteSize: 1024 bytes/workgroup (compile time only)
; SGPRBlocks: 1
; VGPRBlocks: 3
; NumSGPRsForWavesPerEU: 11
; NumVGPRsForWavesPerEU: 16
; Occupancy: 10
; WaveLimiterHint : 0
; COMPUTE_PGM_RSRC2:SCRATCH_EN: 0
; COMPUTE_PGM_RSRC2:USER_SGPR: 6
; COMPUTE_PGM_RSRC2:TRAP_HANDLER: 0
; COMPUTE_PGM_RSRC2:TGID_X_EN: 1
; COMPUTE_PGM_RSRC2:TGID_Y_EN: 0
; COMPUTE_PGM_RSRC2:TGID_Z_EN: 0
; COMPUTE_PGM_RSRC2:TIDIG_COMP_CNT: 0
	.section	.text._Z6kernelI2upfLj256ELj4ELj100EEvPKT0_PS1_,"axG",@progbits,_Z6kernelI2upfLj256ELj4ELj100EEvPKT0_PS1_,comdat
	.protected	_Z6kernelI2upfLj256ELj4ELj100EEvPKT0_PS1_ ; -- Begin function _Z6kernelI2upfLj256ELj4ELj100EEvPKT0_PS1_
	.globl	_Z6kernelI2upfLj256ELj4ELj100EEvPKT0_PS1_
	.p2align	8
	.type	_Z6kernelI2upfLj256ELj4ELj100EEvPKT0_PS1_,@function
_Z6kernelI2upfLj256ELj4ELj100EEvPKT0_PS1_: ; @_Z6kernelI2upfLj256ELj4ELj100EEvPKT0_PS1_
; %bb.0:
	s_load_dwordx4 s[0:3], s[4:5], 0x0
	v_lshlrev_b32_e32 v7, 2, v0
	v_lshl_or_b32 v1, s6, 10, v7
	v_mov_b32_e32 v2, 0
	v_lshlrev_b64 v[5:6], 2, v[1:2]
	s_waitcnt lgkmcnt(0)
	v_mov_b32_e32 v2, s1
	v_add_co_u32_e32 v1, vcc, s0, v5
	v_addc_co_u32_e32 v2, vcc, v2, v6, vcc
	global_load_dwordx4 v[1:4], v[1:2], off
	v_cmp_ne_u32_e32 vcc, 0, v0
	v_add_u32_e32 v8, -4, v7
	s_movk_i32 s4, 0x64
.LBB22_1:                               ; =>This Inner Loop Header: Depth=1
	s_waitcnt vmcnt(0)
	v_mov_b32_e32 v0, v3
	v_mov_b32_e32 v3, v2
	;; [unrolled: 1-line block ×3, first 2 shown]
	ds_write_b32 v7, v4
	s_waitcnt lgkmcnt(0)
	s_barrier
	s_and_saveexec_b64 s[0:1], vcc
; %bb.2:                                ;   in Loop: Header=BB22_1 Depth=1
	ds_read_b32 v1, v8
; %bb.3:                                ;   in Loop: Header=BB22_1 Depth=1
	s_or_b64 exec, exec, s[0:1]
	s_add_i32 s4, s4, -1
	s_cmp_lg_u32 s4, 0
	s_waitcnt lgkmcnt(0)
	s_barrier
	s_cbranch_scc0 .LBB22_5
; %bb.4:                                ;   in Loop: Header=BB22_1 Depth=1
	v_mov_b32_e32 v4, v0
	s_branch .LBB22_1
.LBB22_5:
	v_mov_b32_e32 v4, s3
	v_add_co_u32_e32 v5, vcc, s2, v5
	v_addc_co_u32_e32 v6, vcc, v4, v6, vcc
	v_mov_b32_e32 v4, v0
	global_store_dwordx4 v[5:6], v[1:4], off
	s_endpgm
	.section	.rodata,"a",@progbits
	.p2align	6, 0x0
	.amdhsa_kernel _Z6kernelI2upfLj256ELj4ELj100EEvPKT0_PS1_
		.amdhsa_group_segment_fixed_size 1024
		.amdhsa_private_segment_fixed_size 0
		.amdhsa_kernarg_size 16
		.amdhsa_user_sgpr_count 6
		.amdhsa_user_sgpr_private_segment_buffer 1
		.amdhsa_user_sgpr_dispatch_ptr 0
		.amdhsa_user_sgpr_queue_ptr 0
		.amdhsa_user_sgpr_kernarg_segment_ptr 1
		.amdhsa_user_sgpr_dispatch_id 0
		.amdhsa_user_sgpr_flat_scratch_init 0
		.amdhsa_user_sgpr_private_segment_size 0
		.amdhsa_uses_dynamic_stack 0
		.amdhsa_system_sgpr_private_segment_wavefront_offset 0
		.amdhsa_system_sgpr_workgroup_id_x 1
		.amdhsa_system_sgpr_workgroup_id_y 0
		.amdhsa_system_sgpr_workgroup_id_z 0
		.amdhsa_system_sgpr_workgroup_info 0
		.amdhsa_system_vgpr_workitem_id 0
		.amdhsa_next_free_vgpr 9
		.amdhsa_next_free_sgpr 7
		.amdhsa_reserve_vcc 1
		.amdhsa_reserve_flat_scratch 0
		.amdhsa_float_round_mode_32 0
		.amdhsa_float_round_mode_16_64 0
		.amdhsa_float_denorm_mode_32 3
		.amdhsa_float_denorm_mode_16_64 3
		.amdhsa_dx10_clamp 1
		.amdhsa_ieee_mode 1
		.amdhsa_fp16_overflow 0
		.amdhsa_exception_fp_ieee_invalid_op 0
		.amdhsa_exception_fp_denorm_src 0
		.amdhsa_exception_fp_ieee_div_zero 0
		.amdhsa_exception_fp_ieee_overflow 0
		.amdhsa_exception_fp_ieee_underflow 0
		.amdhsa_exception_fp_ieee_inexact 0
		.amdhsa_exception_int_div_zero 0
	.end_amdhsa_kernel
	.section	.text._Z6kernelI2upfLj256ELj4ELj100EEvPKT0_PS1_,"axG",@progbits,_Z6kernelI2upfLj256ELj4ELj100EEvPKT0_PS1_,comdat
.Lfunc_end22:
	.size	_Z6kernelI2upfLj256ELj4ELj100EEvPKT0_PS1_, .Lfunc_end22-_Z6kernelI2upfLj256ELj4ELj100EEvPKT0_PS1_
                                        ; -- End function
	.set _Z6kernelI2upfLj256ELj4ELj100EEvPKT0_PS1_.num_vgpr, 9
	.set _Z6kernelI2upfLj256ELj4ELj100EEvPKT0_PS1_.num_agpr, 0
	.set _Z6kernelI2upfLj256ELj4ELj100EEvPKT0_PS1_.numbered_sgpr, 7
	.set _Z6kernelI2upfLj256ELj4ELj100EEvPKT0_PS1_.num_named_barrier, 0
	.set _Z6kernelI2upfLj256ELj4ELj100EEvPKT0_PS1_.private_seg_size, 0
	.set _Z6kernelI2upfLj256ELj4ELj100EEvPKT0_PS1_.uses_vcc, 1
	.set _Z6kernelI2upfLj256ELj4ELj100EEvPKT0_PS1_.uses_flat_scratch, 0
	.set _Z6kernelI2upfLj256ELj4ELj100EEvPKT0_PS1_.has_dyn_sized_stack, 0
	.set _Z6kernelI2upfLj256ELj4ELj100EEvPKT0_PS1_.has_recursion, 0
	.set _Z6kernelI2upfLj256ELj4ELj100EEvPKT0_PS1_.has_indirect_call, 0
	.section	.AMDGPU.csdata,"",@progbits
; Kernel info:
; codeLenInByte = 172
; TotalNumSgprs: 11
; NumVgprs: 9
; ScratchSize: 0
; MemoryBound: 0
; FloatMode: 240
; IeeeMode: 1
; LDSByteSize: 1024 bytes/workgroup (compile time only)
; SGPRBlocks: 1
; VGPRBlocks: 2
; NumSGPRsForWavesPerEU: 11
; NumVGPRsForWavesPerEU: 9
; Occupancy: 10
; WaveLimiterHint : 0
; COMPUTE_PGM_RSRC2:SCRATCH_EN: 0
; COMPUTE_PGM_RSRC2:USER_SGPR: 6
; COMPUTE_PGM_RSRC2:TRAP_HANDLER: 0
; COMPUTE_PGM_RSRC2:TGID_X_EN: 1
; COMPUTE_PGM_RSRC2:TGID_Y_EN: 0
; COMPUTE_PGM_RSRC2:TGID_Z_EN: 0
; COMPUTE_PGM_RSRC2:TIDIG_COMP_CNT: 0
	.section	.text._Z6kernelI2upfLj256ELj8ELj100EEvPKT0_PS1_,"axG",@progbits,_Z6kernelI2upfLj256ELj8ELj100EEvPKT0_PS1_,comdat
	.protected	_Z6kernelI2upfLj256ELj8ELj100EEvPKT0_PS1_ ; -- Begin function _Z6kernelI2upfLj256ELj8ELj100EEvPKT0_PS1_
	.globl	_Z6kernelI2upfLj256ELj8ELj100EEvPKT0_PS1_
	.p2align	8
	.type	_Z6kernelI2upfLj256ELj8ELj100EEvPKT0_PS1_,@function
_Z6kernelI2upfLj256ELj8ELj100EEvPKT0_PS1_: ; @_Z6kernelI2upfLj256ELj8ELj100EEvPKT0_PS1_
; %bb.0:
	s_load_dwordx4 s[0:3], s[4:5], 0x0
	v_lshlrev_b32_e32 v1, 3, v0
	v_lshl_or_b32 v1, s6, 11, v1
	v_mov_b32_e32 v2, 0
	v_lshlrev_b64 v[9:10], 2, v[1:2]
	s_waitcnt lgkmcnt(0)
	v_mov_b32_e32 v1, s1
	v_add_co_u32_e32 v11, vcc, s0, v9
	v_addc_co_u32_e32 v12, vcc, v1, v10, vcc
	global_load_dwordx4 v[5:8], v[11:12], off
	global_load_dwordx4 v[1:4], v[11:12], off offset:16
	v_lshlrev_b32_e32 v11, 2, v0
	v_cmp_ne_u32_e32 vcc, 0, v0
	v_add_u32_e32 v12, -4, v11
	s_movk_i32 s4, 0x64
.LBB23_1:                               ; =>This Inner Loop Header: Depth=1
	s_waitcnt vmcnt(0)
	v_mov_b32_e32 v0, v3
	v_mov_b32_e32 v3, v2
	;; [unrolled: 1-line block ×7, first 2 shown]
	ds_write_b32 v11, v4
	s_waitcnt lgkmcnt(0)
	s_barrier
	s_and_saveexec_b64 s[0:1], vcc
; %bb.2:                                ;   in Loop: Header=BB23_1 Depth=1
	ds_read_b32 v5, v12
; %bb.3:                                ;   in Loop: Header=BB23_1 Depth=1
	s_or_b64 exec, exec, s[0:1]
	s_add_i32 s4, s4, -1
	s_cmp_lg_u32 s4, 0
	s_waitcnt lgkmcnt(0)
	s_barrier
	s_cbranch_scc0 .LBB23_5
; %bb.4:                                ;   in Loop: Header=BB23_1 Depth=1
	v_mov_b32_e32 v4, v0
	s_branch .LBB23_1
.LBB23_5:
	v_mov_b32_e32 v4, s3
	v_add_co_u32_e32 v9, vcc, s2, v9
	v_addc_co_u32_e32 v10, vcc, v4, v10, vcc
	v_mov_b32_e32 v4, v0
	global_store_dwordx4 v[9:10], v[5:8], off
	global_store_dwordx4 v[9:10], v[1:4], off offset:16
	s_endpgm
	.section	.rodata,"a",@progbits
	.p2align	6, 0x0
	.amdhsa_kernel _Z6kernelI2upfLj256ELj8ELj100EEvPKT0_PS1_
		.amdhsa_group_segment_fixed_size 1024
		.amdhsa_private_segment_fixed_size 0
		.amdhsa_kernarg_size 16
		.amdhsa_user_sgpr_count 6
		.amdhsa_user_sgpr_private_segment_buffer 1
		.amdhsa_user_sgpr_dispatch_ptr 0
		.amdhsa_user_sgpr_queue_ptr 0
		.amdhsa_user_sgpr_kernarg_segment_ptr 1
		.amdhsa_user_sgpr_dispatch_id 0
		.amdhsa_user_sgpr_flat_scratch_init 0
		.amdhsa_user_sgpr_private_segment_size 0
		.amdhsa_uses_dynamic_stack 0
		.amdhsa_system_sgpr_private_segment_wavefront_offset 0
		.amdhsa_system_sgpr_workgroup_id_x 1
		.amdhsa_system_sgpr_workgroup_id_y 0
		.amdhsa_system_sgpr_workgroup_id_z 0
		.amdhsa_system_sgpr_workgroup_info 0
		.amdhsa_system_vgpr_workitem_id 0
		.amdhsa_next_free_vgpr 13
		.amdhsa_next_free_sgpr 7
		.amdhsa_reserve_vcc 1
		.amdhsa_reserve_flat_scratch 0
		.amdhsa_float_round_mode_32 0
		.amdhsa_float_round_mode_16_64 0
		.amdhsa_float_denorm_mode_32 3
		.amdhsa_float_denorm_mode_16_64 3
		.amdhsa_dx10_clamp 1
		.amdhsa_ieee_mode 1
		.amdhsa_fp16_overflow 0
		.amdhsa_exception_fp_ieee_invalid_op 0
		.amdhsa_exception_fp_denorm_src 0
		.amdhsa_exception_fp_ieee_div_zero 0
		.amdhsa_exception_fp_ieee_overflow 0
		.amdhsa_exception_fp_ieee_underflow 0
		.amdhsa_exception_fp_ieee_inexact 0
		.amdhsa_exception_int_div_zero 0
	.end_amdhsa_kernel
	.section	.text._Z6kernelI2upfLj256ELj8ELj100EEvPKT0_PS1_,"axG",@progbits,_Z6kernelI2upfLj256ELj8ELj100EEvPKT0_PS1_,comdat
.Lfunc_end23:
	.size	_Z6kernelI2upfLj256ELj8ELj100EEvPKT0_PS1_, .Lfunc_end23-_Z6kernelI2upfLj256ELj8ELj100EEvPKT0_PS1_
                                        ; -- End function
	.set _Z6kernelI2upfLj256ELj8ELj100EEvPKT0_PS1_.num_vgpr, 13
	.set _Z6kernelI2upfLj256ELj8ELj100EEvPKT0_PS1_.num_agpr, 0
	.set _Z6kernelI2upfLj256ELj8ELj100EEvPKT0_PS1_.numbered_sgpr, 7
	.set _Z6kernelI2upfLj256ELj8ELj100EEvPKT0_PS1_.num_named_barrier, 0
	.set _Z6kernelI2upfLj256ELj8ELj100EEvPKT0_PS1_.private_seg_size, 0
	.set _Z6kernelI2upfLj256ELj8ELj100EEvPKT0_PS1_.uses_vcc, 1
	.set _Z6kernelI2upfLj256ELj8ELj100EEvPKT0_PS1_.uses_flat_scratch, 0
	.set _Z6kernelI2upfLj256ELj8ELj100EEvPKT0_PS1_.has_dyn_sized_stack, 0
	.set _Z6kernelI2upfLj256ELj8ELj100EEvPKT0_PS1_.has_recursion, 0
	.set _Z6kernelI2upfLj256ELj8ELj100EEvPKT0_PS1_.has_indirect_call, 0
	.section	.AMDGPU.csdata,"",@progbits
; Kernel info:
; codeLenInByte = 208
; TotalNumSgprs: 11
; NumVgprs: 13
; ScratchSize: 0
; MemoryBound: 0
; FloatMode: 240
; IeeeMode: 1
; LDSByteSize: 1024 bytes/workgroup (compile time only)
; SGPRBlocks: 1
; VGPRBlocks: 3
; NumSGPRsForWavesPerEU: 11
; NumVGPRsForWavesPerEU: 13
; Occupancy: 10
; WaveLimiterHint : 0
; COMPUTE_PGM_RSRC2:SCRATCH_EN: 0
; COMPUTE_PGM_RSRC2:USER_SGPR: 6
; COMPUTE_PGM_RSRC2:TRAP_HANDLER: 0
; COMPUTE_PGM_RSRC2:TGID_X_EN: 1
; COMPUTE_PGM_RSRC2:TGID_Y_EN: 0
; COMPUTE_PGM_RSRC2:TGID_Z_EN: 0
; COMPUTE_PGM_RSRC2:TIDIG_COMP_CNT: 0
	.section	.text._Z6kernelI2upfLj256ELj16ELj100EEvPKT0_PS1_,"axG",@progbits,_Z6kernelI2upfLj256ELj16ELj100EEvPKT0_PS1_,comdat
	.protected	_Z6kernelI2upfLj256ELj16ELj100EEvPKT0_PS1_ ; -- Begin function _Z6kernelI2upfLj256ELj16ELj100EEvPKT0_PS1_
	.globl	_Z6kernelI2upfLj256ELj16ELj100EEvPKT0_PS1_
	.p2align	8
	.type	_Z6kernelI2upfLj256ELj16ELj100EEvPKT0_PS1_,@function
_Z6kernelI2upfLj256ELj16ELj100EEvPKT0_PS1_: ; @_Z6kernelI2upfLj256ELj16ELj100EEvPKT0_PS1_
; %bb.0:
	s_load_dwordx4 s[0:3], s[4:5], 0x0
	v_lshlrev_b32_e32 v1, 4, v0
	v_lshl_or_b32 v1, s6, 12, v1
	v_mov_b32_e32 v2, 0
	v_lshlrev_b64 v[17:18], 2, v[1:2]
	s_waitcnt lgkmcnt(0)
	v_mov_b32_e32 v1, s1
	v_add_co_u32_e32 v19, vcc, s0, v17
	v_addc_co_u32_e32 v20, vcc, v1, v18, vcc
	global_load_dwordx4 v[1:4], v[19:20], off
	global_load_dwordx4 v[5:8], v[19:20], off offset:16
	global_load_dwordx4 v[9:12], v[19:20], off offset:32
	;; [unrolled: 1-line block ×3, first 2 shown]
	v_lshlrev_b32_e32 v19, 2, v0
	v_cmp_ne_u32_e32 vcc, 0, v0
	v_add_u32_e32 v20, -4, v19
	s_movk_i32 s4, 0x64
.LBB24_1:                               ; =>This Inner Loop Header: Depth=1
	s_waitcnt vmcnt(3)
	v_mov_b32_e32 v0, v1
	s_waitcnt vmcnt(0)
	ds_write_b32 v19, v16
	s_waitcnt lgkmcnt(0)
	s_barrier
	s_and_saveexec_b64 s[0:1], vcc
; %bb.2:                                ;   in Loop: Header=BB24_1 Depth=1
	ds_read_b32 v0, v20
; %bb.3:                                ;   in Loop: Header=BB24_1 Depth=1
	s_or_b64 exec, exec, s[0:1]
	s_add_i32 s4, s4, -1
	s_cmp_lg_u32 s4, 0
	s_waitcnt lgkmcnt(0)
	s_barrier
	s_cbranch_scc0 .LBB24_5
; %bb.4:                                ;   in Loop: Header=BB24_1 Depth=1
	v_mov_b32_e32 v16, v15
	v_mov_b32_e32 v15, v14
	;; [unrolled: 1-line block ×16, first 2 shown]
	s_branch .LBB24_1
.LBB24_5:
	v_mov_b32_e32 v19, s3
	v_add_co_u32_e32 v16, vcc, s2, v17
	v_addc_co_u32_e32 v17, vcc, v19, v18, vcc
	global_store_dwordx4 v[16:17], v[0:3], off
	s_nop 0
	v_mov_b32_e32 v0, v4
	v_mov_b32_e32 v1, v5
	v_mov_b32_e32 v2, v6
	v_mov_b32_e32 v3, v7
	global_store_dwordx4 v[16:17], v[0:3], off offset:16
	s_nop 0
	v_mov_b32_e32 v0, v8
	v_mov_b32_e32 v1, v9
	v_mov_b32_e32 v2, v10
	v_mov_b32_e32 v3, v11
	global_store_dwordx4 v[16:17], v[0:3], off offset:32
	;; [unrolled: 6-line block ×3, first 2 shown]
	s_endpgm
	.section	.rodata,"a",@progbits
	.p2align	6, 0x0
	.amdhsa_kernel _Z6kernelI2upfLj256ELj16ELj100EEvPKT0_PS1_
		.amdhsa_group_segment_fixed_size 1024
		.amdhsa_private_segment_fixed_size 0
		.amdhsa_kernarg_size 16
		.amdhsa_user_sgpr_count 6
		.amdhsa_user_sgpr_private_segment_buffer 1
		.amdhsa_user_sgpr_dispatch_ptr 0
		.amdhsa_user_sgpr_queue_ptr 0
		.amdhsa_user_sgpr_kernarg_segment_ptr 1
		.amdhsa_user_sgpr_dispatch_id 0
		.amdhsa_user_sgpr_flat_scratch_init 0
		.amdhsa_user_sgpr_private_segment_size 0
		.amdhsa_uses_dynamic_stack 0
		.amdhsa_system_sgpr_private_segment_wavefront_offset 0
		.amdhsa_system_sgpr_workgroup_id_x 1
		.amdhsa_system_sgpr_workgroup_id_y 0
		.amdhsa_system_sgpr_workgroup_id_z 0
		.amdhsa_system_sgpr_workgroup_info 0
		.amdhsa_system_vgpr_workitem_id 0
		.amdhsa_next_free_vgpr 21
		.amdhsa_next_free_sgpr 7
		.amdhsa_reserve_vcc 1
		.amdhsa_reserve_flat_scratch 0
		.amdhsa_float_round_mode_32 0
		.amdhsa_float_round_mode_16_64 0
		.amdhsa_float_denorm_mode_32 3
		.amdhsa_float_denorm_mode_16_64 3
		.amdhsa_dx10_clamp 1
		.amdhsa_ieee_mode 1
		.amdhsa_fp16_overflow 0
		.amdhsa_exception_fp_ieee_invalid_op 0
		.amdhsa_exception_fp_denorm_src 0
		.amdhsa_exception_fp_ieee_div_zero 0
		.amdhsa_exception_fp_ieee_overflow 0
		.amdhsa_exception_fp_ieee_underflow 0
		.amdhsa_exception_fp_ieee_inexact 0
		.amdhsa_exception_int_div_zero 0
	.end_amdhsa_kernel
	.section	.text._Z6kernelI2upfLj256ELj16ELj100EEvPKT0_PS1_,"axG",@progbits,_Z6kernelI2upfLj256ELj16ELj100EEvPKT0_PS1_,comdat
.Lfunc_end24:
	.size	_Z6kernelI2upfLj256ELj16ELj100EEvPKT0_PS1_, .Lfunc_end24-_Z6kernelI2upfLj256ELj16ELj100EEvPKT0_PS1_
                                        ; -- End function
	.set _Z6kernelI2upfLj256ELj16ELj100EEvPKT0_PS1_.num_vgpr, 21
	.set _Z6kernelI2upfLj256ELj16ELj100EEvPKT0_PS1_.num_agpr, 0
	.set _Z6kernelI2upfLj256ELj16ELj100EEvPKT0_PS1_.numbered_sgpr, 7
	.set _Z6kernelI2upfLj256ELj16ELj100EEvPKT0_PS1_.num_named_barrier, 0
	.set _Z6kernelI2upfLj256ELj16ELj100EEvPKT0_PS1_.private_seg_size, 0
	.set _Z6kernelI2upfLj256ELj16ELj100EEvPKT0_PS1_.uses_vcc, 1
	.set _Z6kernelI2upfLj256ELj16ELj100EEvPKT0_PS1_.uses_flat_scratch, 0
	.set _Z6kernelI2upfLj256ELj16ELj100EEvPKT0_PS1_.has_dyn_sized_stack, 0
	.set _Z6kernelI2upfLj256ELj16ELj100EEvPKT0_PS1_.has_recursion, 0
	.set _Z6kernelI2upfLj256ELj16ELj100EEvPKT0_PS1_.has_indirect_call, 0
	.section	.AMDGPU.csdata,"",@progbits
; Kernel info:
; codeLenInByte = 336
; TotalNumSgprs: 11
; NumVgprs: 21
; ScratchSize: 0
; MemoryBound: 0
; FloatMode: 240
; IeeeMode: 1
; LDSByteSize: 1024 bytes/workgroup (compile time only)
; SGPRBlocks: 1
; VGPRBlocks: 5
; NumSGPRsForWavesPerEU: 11
; NumVGPRsForWavesPerEU: 21
; Occupancy: 10
; WaveLimiterHint : 0
; COMPUTE_PGM_RSRC2:SCRATCH_EN: 0
; COMPUTE_PGM_RSRC2:USER_SGPR: 6
; COMPUTE_PGM_RSRC2:TRAP_HANDLER: 0
; COMPUTE_PGM_RSRC2:TGID_X_EN: 1
; COMPUTE_PGM_RSRC2:TGID_Y_EN: 0
; COMPUTE_PGM_RSRC2:TGID_Z_EN: 0
; COMPUTE_PGM_RSRC2:TIDIG_COMP_CNT: 0
	.section	.text._Z6kernelI2upfLj256ELj32ELj100EEvPKT0_PS1_,"axG",@progbits,_Z6kernelI2upfLj256ELj32ELj100EEvPKT0_PS1_,comdat
	.protected	_Z6kernelI2upfLj256ELj32ELj100EEvPKT0_PS1_ ; -- Begin function _Z6kernelI2upfLj256ELj32ELj100EEvPKT0_PS1_
	.globl	_Z6kernelI2upfLj256ELj32ELj100EEvPKT0_PS1_
	.p2align	8
	.type	_Z6kernelI2upfLj256ELj32ELj100EEvPKT0_PS1_,@function
_Z6kernelI2upfLj256ELj32ELj100EEvPKT0_PS1_: ; @_Z6kernelI2upfLj256ELj32ELj100EEvPKT0_PS1_
; %bb.0:
	s_load_dwordx4 s[0:3], s[4:5], 0x0
	v_lshlrev_b32_e32 v1, 5, v0
	v_lshl_or_b32 v1, s6, 13, v1
	v_mov_b32_e32 v2, 0
	v_lshlrev_b64 v[33:34], 2, v[1:2]
	s_waitcnt lgkmcnt(0)
	v_mov_b32_e32 v1, s1
	v_add_co_u32_e32 v35, vcc, s0, v33
	v_addc_co_u32_e32 v36, vcc, v1, v34, vcc
	global_load_dwordx4 v[1:4], v[35:36], off
	global_load_dwordx4 v[5:8], v[35:36], off offset:16
	global_load_dwordx4 v[29:32], v[35:36], off offset:32
	;; [unrolled: 1-line block ×7, first 2 shown]
	v_lshlrev_b32_e32 v35, 2, v0
	v_cmp_ne_u32_e32 vcc, 0, v0
	s_movk_i32 s4, 0x64
	v_add_u32_e32 v36, -4, v35
.LBB25_1:                               ; =>This Inner Loop Header: Depth=1
	s_waitcnt vmcnt(7)
	v_mov_b32_e32 v0, v1
	s_waitcnt vmcnt(0)
	ds_write_b32 v35, v12
	s_waitcnt lgkmcnt(0)
	s_barrier
	s_and_saveexec_b64 s[0:1], vcc
; %bb.2:                                ;   in Loop: Header=BB25_1 Depth=1
	ds_read_b32 v0, v36
; %bb.3:                                ;   in Loop: Header=BB25_1 Depth=1
	s_or_b64 exec, exec, s[0:1]
	s_add_i32 s4, s4, -1
	s_cmp_lg_u32 s4, 0
	s_waitcnt lgkmcnt(0)
	s_barrier
	s_cbranch_scc0 .LBB25_5
; %bb.4:                                ;   in Loop: Header=BB25_1 Depth=1
	v_mov_b32_e32 v12, v11
	v_mov_b32_e32 v11, v10
	;; [unrolled: 1-line block ×32, first 2 shown]
	s_branch .LBB25_1
.LBB25_5:
	v_mov_b32_e32 v12, s3
	v_add_co_u32_e32 v33, vcc, s2, v33
	v_addc_co_u32_e32 v34, vcc, v12, v34, vcc
	global_store_dwordx4 v[33:34], v[0:3], off
	s_nop 0
	v_mov_b32_e32 v0, v4
	v_mov_b32_e32 v1, v5
	v_mov_b32_e32 v2, v6
	v_mov_b32_e32 v3, v7
	global_store_dwordx4 v[33:34], v[0:3], off offset:16
	s_nop 0
	v_mov_b32_e32 v0, v8
	v_mov_b32_e32 v1, v29
	v_mov_b32_e32 v2, v30
	v_mov_b32_e32 v3, v31
	global_store_dwordx4 v[33:34], v[0:3], off offset:32
	;; [unrolled: 6-line block ×7, first 2 shown]
	s_endpgm
	.section	.rodata,"a",@progbits
	.p2align	6, 0x0
	.amdhsa_kernel _Z6kernelI2upfLj256ELj32ELj100EEvPKT0_PS1_
		.amdhsa_group_segment_fixed_size 1024
		.amdhsa_private_segment_fixed_size 0
		.amdhsa_kernarg_size 16
		.amdhsa_user_sgpr_count 6
		.amdhsa_user_sgpr_private_segment_buffer 1
		.amdhsa_user_sgpr_dispatch_ptr 0
		.amdhsa_user_sgpr_queue_ptr 0
		.amdhsa_user_sgpr_kernarg_segment_ptr 1
		.amdhsa_user_sgpr_dispatch_id 0
		.amdhsa_user_sgpr_flat_scratch_init 0
		.amdhsa_user_sgpr_private_segment_size 0
		.amdhsa_uses_dynamic_stack 0
		.amdhsa_system_sgpr_private_segment_wavefront_offset 0
		.amdhsa_system_sgpr_workgroup_id_x 1
		.amdhsa_system_sgpr_workgroup_id_y 0
		.amdhsa_system_sgpr_workgroup_id_z 0
		.amdhsa_system_sgpr_workgroup_info 0
		.amdhsa_system_vgpr_workitem_id 0
		.amdhsa_next_free_vgpr 37
		.amdhsa_next_free_sgpr 7
		.amdhsa_reserve_vcc 1
		.amdhsa_reserve_flat_scratch 0
		.amdhsa_float_round_mode_32 0
		.amdhsa_float_round_mode_16_64 0
		.amdhsa_float_denorm_mode_32 3
		.amdhsa_float_denorm_mode_16_64 3
		.amdhsa_dx10_clamp 1
		.amdhsa_ieee_mode 1
		.amdhsa_fp16_overflow 0
		.amdhsa_exception_fp_ieee_invalid_op 0
		.amdhsa_exception_fp_denorm_src 0
		.amdhsa_exception_fp_ieee_div_zero 0
		.amdhsa_exception_fp_ieee_overflow 0
		.amdhsa_exception_fp_ieee_underflow 0
		.amdhsa_exception_fp_ieee_inexact 0
		.amdhsa_exception_int_div_zero 0
	.end_amdhsa_kernel
	.section	.text._Z6kernelI2upfLj256ELj32ELj100EEvPKT0_PS1_,"axG",@progbits,_Z6kernelI2upfLj256ELj32ELj100EEvPKT0_PS1_,comdat
.Lfunc_end25:
	.size	_Z6kernelI2upfLj256ELj32ELj100EEvPKT0_PS1_, .Lfunc_end25-_Z6kernelI2upfLj256ELj32ELj100EEvPKT0_PS1_
                                        ; -- End function
	.set _Z6kernelI2upfLj256ELj32ELj100EEvPKT0_PS1_.num_vgpr, 37
	.set _Z6kernelI2upfLj256ELj32ELj100EEvPKT0_PS1_.num_agpr, 0
	.set _Z6kernelI2upfLj256ELj32ELj100EEvPKT0_PS1_.numbered_sgpr, 7
	.set _Z6kernelI2upfLj256ELj32ELj100EEvPKT0_PS1_.num_named_barrier, 0
	.set _Z6kernelI2upfLj256ELj32ELj100EEvPKT0_PS1_.private_seg_size, 0
	.set _Z6kernelI2upfLj256ELj32ELj100EEvPKT0_PS1_.uses_vcc, 1
	.set _Z6kernelI2upfLj256ELj32ELj100EEvPKT0_PS1_.uses_flat_scratch, 0
	.set _Z6kernelI2upfLj256ELj32ELj100EEvPKT0_PS1_.has_dyn_sized_stack, 0
	.set _Z6kernelI2upfLj256ELj32ELj100EEvPKT0_PS1_.has_recursion, 0
	.set _Z6kernelI2upfLj256ELj32ELj100EEvPKT0_PS1_.has_indirect_call, 0
	.section	.AMDGPU.csdata,"",@progbits
; Kernel info:
; codeLenInByte = 544
; TotalNumSgprs: 11
; NumVgprs: 37
; ScratchSize: 0
; MemoryBound: 1
; FloatMode: 240
; IeeeMode: 1
; LDSByteSize: 1024 bytes/workgroup (compile time only)
; SGPRBlocks: 1
; VGPRBlocks: 9
; NumSGPRsForWavesPerEU: 11
; NumVGPRsForWavesPerEU: 37
; Occupancy: 6
; WaveLimiterHint : 0
; COMPUTE_PGM_RSRC2:SCRATCH_EN: 0
; COMPUTE_PGM_RSRC2:USER_SGPR: 6
; COMPUTE_PGM_RSRC2:TRAP_HANDLER: 0
; COMPUTE_PGM_RSRC2:TGID_X_EN: 1
; COMPUTE_PGM_RSRC2:TGID_Y_EN: 0
; COMPUTE_PGM_RSRC2:TGID_Z_EN: 0
; COMPUTE_PGM_RSRC2:TIDIG_COMP_CNT: 0
	.section	.text._Z6kernelI2updLj256ELj1ELj100EEvPKT0_PS1_,"axG",@progbits,_Z6kernelI2updLj256ELj1ELj100EEvPKT0_PS1_,comdat
	.protected	_Z6kernelI2updLj256ELj1ELj100EEvPKT0_PS1_ ; -- Begin function _Z6kernelI2updLj256ELj1ELj100EEvPKT0_PS1_
	.globl	_Z6kernelI2updLj256ELj1ELj100EEvPKT0_PS1_
	.p2align	8
	.type	_Z6kernelI2updLj256ELj1ELj100EEvPKT0_PS1_,@function
_Z6kernelI2updLj256ELj1ELj100EEvPKT0_PS1_: ; @_Z6kernelI2updLj256ELj1ELj100EEvPKT0_PS1_
; %bb.0:
	s_load_dwordx4 s[0:3], s[4:5], 0x0
	v_lshl_or_b32 v1, s6, 8, v0
	v_mov_b32_e32 v2, 0
	v_lshlrev_b64 v[1:2], 3, v[1:2]
	v_lshlrev_b32_e32 v5, 3, v0
	s_waitcnt lgkmcnt(0)
	v_mov_b32_e32 v4, s1
	v_add_co_u32_e32 v3, vcc, s0, v1
	v_addc_co_u32_e32 v4, vcc, v4, v2, vcc
	global_load_dwordx2 v[3:4], v[3:4], off
	v_cmp_ne_u32_e32 vcc, 0, v0
	v_add_u32_e32 v0, -8, v5
	s_movk_i32 s4, 0x64
	s_branch .LBB26_2
.LBB26_1:                               ;   in Loop: Header=BB26_2 Depth=1
	s_or_b64 exec, exec, s[0:1]
	s_add_i32 s4, s4, -1
	s_cmp_lg_u32 s4, 0
	s_waitcnt lgkmcnt(0)
	s_barrier
	s_cbranch_scc0 .LBB26_4
.LBB26_2:                               ; =>This Inner Loop Header: Depth=1
	s_waitcnt vmcnt(0)
	ds_write_b64 v5, v[3:4]
	s_waitcnt lgkmcnt(0)
	s_barrier
	s_and_saveexec_b64 s[0:1], vcc
	s_cbranch_execz .LBB26_1
; %bb.3:                                ;   in Loop: Header=BB26_2 Depth=1
	ds_read_b64 v[3:4], v0
	s_branch .LBB26_1
.LBB26_4:
	v_mov_b32_e32 v5, s3
	v_add_co_u32_e32 v0, vcc, s2, v1
	v_addc_co_u32_e32 v1, vcc, v5, v2, vcc
	global_store_dwordx2 v[0:1], v[3:4], off
	s_endpgm
	.section	.rodata,"a",@progbits
	.p2align	6, 0x0
	.amdhsa_kernel _Z6kernelI2updLj256ELj1ELj100EEvPKT0_PS1_
		.amdhsa_group_segment_fixed_size 2048
		.amdhsa_private_segment_fixed_size 0
		.amdhsa_kernarg_size 16
		.amdhsa_user_sgpr_count 6
		.amdhsa_user_sgpr_private_segment_buffer 1
		.amdhsa_user_sgpr_dispatch_ptr 0
		.amdhsa_user_sgpr_queue_ptr 0
		.amdhsa_user_sgpr_kernarg_segment_ptr 1
		.amdhsa_user_sgpr_dispatch_id 0
		.amdhsa_user_sgpr_flat_scratch_init 0
		.amdhsa_user_sgpr_private_segment_size 0
		.amdhsa_uses_dynamic_stack 0
		.amdhsa_system_sgpr_private_segment_wavefront_offset 0
		.amdhsa_system_sgpr_workgroup_id_x 1
		.amdhsa_system_sgpr_workgroup_id_y 0
		.amdhsa_system_sgpr_workgroup_id_z 0
		.amdhsa_system_sgpr_workgroup_info 0
		.amdhsa_system_vgpr_workitem_id 0
		.amdhsa_next_free_vgpr 6
		.amdhsa_next_free_sgpr 7
		.amdhsa_reserve_vcc 1
		.amdhsa_reserve_flat_scratch 0
		.amdhsa_float_round_mode_32 0
		.amdhsa_float_round_mode_16_64 0
		.amdhsa_float_denorm_mode_32 3
		.amdhsa_float_denorm_mode_16_64 3
		.amdhsa_dx10_clamp 1
		.amdhsa_ieee_mode 1
		.amdhsa_fp16_overflow 0
		.amdhsa_exception_fp_ieee_invalid_op 0
		.amdhsa_exception_fp_denorm_src 0
		.amdhsa_exception_fp_ieee_div_zero 0
		.amdhsa_exception_fp_ieee_overflow 0
		.amdhsa_exception_fp_ieee_underflow 0
		.amdhsa_exception_fp_ieee_inexact 0
		.amdhsa_exception_int_div_zero 0
	.end_amdhsa_kernel
	.section	.text._Z6kernelI2updLj256ELj1ELj100EEvPKT0_PS1_,"axG",@progbits,_Z6kernelI2updLj256ELj1ELj100EEvPKT0_PS1_,comdat
.Lfunc_end26:
	.size	_Z6kernelI2updLj256ELj1ELj100EEvPKT0_PS1_, .Lfunc_end26-_Z6kernelI2updLj256ELj1ELj100EEvPKT0_PS1_
                                        ; -- End function
	.set _Z6kernelI2updLj256ELj1ELj100EEvPKT0_PS1_.num_vgpr, 6
	.set _Z6kernelI2updLj256ELj1ELj100EEvPKT0_PS1_.num_agpr, 0
	.set _Z6kernelI2updLj256ELj1ELj100EEvPKT0_PS1_.numbered_sgpr, 7
	.set _Z6kernelI2updLj256ELj1ELj100EEvPKT0_PS1_.num_named_barrier, 0
	.set _Z6kernelI2updLj256ELj1ELj100EEvPKT0_PS1_.private_seg_size, 0
	.set _Z6kernelI2updLj256ELj1ELj100EEvPKT0_PS1_.uses_vcc, 1
	.set _Z6kernelI2updLj256ELj1ELj100EEvPKT0_PS1_.uses_flat_scratch, 0
	.set _Z6kernelI2updLj256ELj1ELj100EEvPKT0_PS1_.has_dyn_sized_stack, 0
	.set _Z6kernelI2updLj256ELj1ELj100EEvPKT0_PS1_.has_recursion, 0
	.set _Z6kernelI2updLj256ELj1ELj100EEvPKT0_PS1_.has_indirect_call, 0
	.section	.AMDGPU.csdata,"",@progbits
; Kernel info:
; codeLenInByte = 160
; TotalNumSgprs: 11
; NumVgprs: 6
; ScratchSize: 0
; MemoryBound: 0
; FloatMode: 240
; IeeeMode: 1
; LDSByteSize: 2048 bytes/workgroup (compile time only)
; SGPRBlocks: 1
; VGPRBlocks: 1
; NumSGPRsForWavesPerEU: 11
; NumVGPRsForWavesPerEU: 6
; Occupancy: 10
; WaveLimiterHint : 0
; COMPUTE_PGM_RSRC2:SCRATCH_EN: 0
; COMPUTE_PGM_RSRC2:USER_SGPR: 6
; COMPUTE_PGM_RSRC2:TRAP_HANDLER: 0
; COMPUTE_PGM_RSRC2:TGID_X_EN: 1
; COMPUTE_PGM_RSRC2:TGID_Y_EN: 0
; COMPUTE_PGM_RSRC2:TGID_Z_EN: 0
; COMPUTE_PGM_RSRC2:TIDIG_COMP_CNT: 0
	.section	.text._Z6kernelI2updLj256ELj3ELj100EEvPKT0_PS1_,"axG",@progbits,_Z6kernelI2updLj256ELj3ELj100EEvPKT0_PS1_,comdat
	.protected	_Z6kernelI2updLj256ELj3ELj100EEvPKT0_PS1_ ; -- Begin function _Z6kernelI2updLj256ELj3ELj100EEvPKT0_PS1_
	.globl	_Z6kernelI2updLj256ELj3ELj100EEvPKT0_PS1_
	.p2align	8
	.type	_Z6kernelI2updLj256ELj3ELj100EEvPKT0_PS1_,@function
_Z6kernelI2updLj256ELj3ELj100EEvPKT0_PS1_: ; @_Z6kernelI2updLj256ELj3ELj100EEvPKT0_PS1_
; %bb.0:
	s_load_dwordx4 s[0:3], s[4:5], 0x0
	v_lshl_or_b32 v1, s6, 8, v0
	v_lshl_add_u32 v5, v1, 1, v1
	v_mov_b32_e32 v6, 0
	v_lshlrev_b64 v[1:2], 3, v[5:6]
	s_waitcnt lgkmcnt(0)
	v_mov_b32_e32 v3, s1
	v_add_co_u32_e32 v11, vcc, s0, v1
	v_addc_co_u32_e32 v12, vcc, v3, v2, vcc
	v_add_u32_e32 v3, 1, v5
	v_mov_b32_e32 v4, v6
	v_lshlrev_b64 v[3:4], 3, v[3:4]
	v_add_u32_e32 v5, 2, v5
	v_mov_b32_e32 v7, s1
	v_add_co_u32_e32 v15, vcc, s0, v3
	v_lshlrev_b64 v[5:6], 3, v[5:6]
	v_addc_co_u32_e32 v16, vcc, v7, v4, vcc
	v_add_co_u32_e32 v17, vcc, s0, v5
	v_addc_co_u32_e32 v18, vcc, v7, v6, vcc
	global_load_dwordx2 v[9:10], v[11:12], off
	global_load_dwordx2 v[7:8], v[15:16], off
	global_load_dwordx2 v[13:14], v[17:18], off
	v_lshlrev_b32_e32 v15, 3, v0
	v_cmp_ne_u32_e32 vcc, 0, v0
	v_add_u32_e32 v0, -8, v15
	s_movk_i32 s4, 0x64
.LBB27_1:                               ; =>This Inner Loop Header: Depth=1
	s_waitcnt vmcnt(1)
	v_mov_b32_e32 v12, v8
	v_mov_b32_e32 v11, v7
	;; [unrolled: 1-line block ×4, first 2 shown]
	s_waitcnt vmcnt(0)
	ds_write_b64 v15, v[13:14]
	s_waitcnt lgkmcnt(0)
	s_barrier
	s_and_saveexec_b64 s[0:1], vcc
; %bb.2:                                ;   in Loop: Header=BB27_1 Depth=1
	ds_read_b64 v[9:10], v0
; %bb.3:                                ;   in Loop: Header=BB27_1 Depth=1
	s_or_b64 exec, exec, s[0:1]
	s_add_i32 s4, s4, -1
	s_cmp_lg_u32 s4, 0
	s_waitcnt lgkmcnt(0)
	s_barrier
	s_cbranch_scc0 .LBB27_5
; %bb.4:                                ;   in Loop: Header=BB27_1 Depth=1
	v_mov_b32_e32 v14, v12
	v_mov_b32_e32 v13, v11
	s_branch .LBB27_1
.LBB27_5:
	v_mov_b32_e32 v13, s3
	v_add_co_u32_e32 v0, vcc, s2, v1
	v_addc_co_u32_e32 v1, vcc, v13, v2, vcc
	global_store_dwordx2 v[0:1], v[9:10], off
	v_mov_b32_e32 v1, s3
	v_add_co_u32_e32 v0, vcc, s2, v3
	v_addc_co_u32_e32 v1, vcc, v1, v4, vcc
	global_store_dwordx2 v[0:1], v[7:8], off
	;; [unrolled: 4-line block ×3, first 2 shown]
	s_endpgm
	.section	.rodata,"a",@progbits
	.p2align	6, 0x0
	.amdhsa_kernel _Z6kernelI2updLj256ELj3ELj100EEvPKT0_PS1_
		.amdhsa_group_segment_fixed_size 2048
		.amdhsa_private_segment_fixed_size 0
		.amdhsa_kernarg_size 16
		.amdhsa_user_sgpr_count 6
		.amdhsa_user_sgpr_private_segment_buffer 1
		.amdhsa_user_sgpr_dispatch_ptr 0
		.amdhsa_user_sgpr_queue_ptr 0
		.amdhsa_user_sgpr_kernarg_segment_ptr 1
		.amdhsa_user_sgpr_dispatch_id 0
		.amdhsa_user_sgpr_flat_scratch_init 0
		.amdhsa_user_sgpr_private_segment_size 0
		.amdhsa_uses_dynamic_stack 0
		.amdhsa_system_sgpr_private_segment_wavefront_offset 0
		.amdhsa_system_sgpr_workgroup_id_x 1
		.amdhsa_system_sgpr_workgroup_id_y 0
		.amdhsa_system_sgpr_workgroup_id_z 0
		.amdhsa_system_sgpr_workgroup_info 0
		.amdhsa_system_vgpr_workitem_id 0
		.amdhsa_next_free_vgpr 19
		.amdhsa_next_free_sgpr 7
		.amdhsa_reserve_vcc 1
		.amdhsa_reserve_flat_scratch 0
		.amdhsa_float_round_mode_32 0
		.amdhsa_float_round_mode_16_64 0
		.amdhsa_float_denorm_mode_32 3
		.amdhsa_float_denorm_mode_16_64 3
		.amdhsa_dx10_clamp 1
		.amdhsa_ieee_mode 1
		.amdhsa_fp16_overflow 0
		.amdhsa_exception_fp_ieee_invalid_op 0
		.amdhsa_exception_fp_denorm_src 0
		.amdhsa_exception_fp_ieee_div_zero 0
		.amdhsa_exception_fp_ieee_overflow 0
		.amdhsa_exception_fp_ieee_underflow 0
		.amdhsa_exception_fp_ieee_inexact 0
		.amdhsa_exception_int_div_zero 0
	.end_amdhsa_kernel
	.section	.text._Z6kernelI2updLj256ELj3ELj100EEvPKT0_PS1_,"axG",@progbits,_Z6kernelI2updLj256ELj3ELj100EEvPKT0_PS1_,comdat
.Lfunc_end27:
	.size	_Z6kernelI2updLj256ELj3ELj100EEvPKT0_PS1_, .Lfunc_end27-_Z6kernelI2updLj256ELj3ELj100EEvPKT0_PS1_
                                        ; -- End function
	.set _Z6kernelI2updLj256ELj3ELj100EEvPKT0_PS1_.num_vgpr, 19
	.set _Z6kernelI2updLj256ELj3ELj100EEvPKT0_PS1_.num_agpr, 0
	.set _Z6kernelI2updLj256ELj3ELj100EEvPKT0_PS1_.numbered_sgpr, 7
	.set _Z6kernelI2updLj256ELj3ELj100EEvPKT0_PS1_.num_named_barrier, 0
	.set _Z6kernelI2updLj256ELj3ELj100EEvPKT0_PS1_.private_seg_size, 0
	.set _Z6kernelI2updLj256ELj3ELj100EEvPKT0_PS1_.uses_vcc, 1
	.set _Z6kernelI2updLj256ELj3ELj100EEvPKT0_PS1_.uses_flat_scratch, 0
	.set _Z6kernelI2updLj256ELj3ELj100EEvPKT0_PS1_.has_dyn_sized_stack, 0
	.set _Z6kernelI2updLj256ELj3ELj100EEvPKT0_PS1_.has_recursion, 0
	.set _Z6kernelI2updLj256ELj3ELj100EEvPKT0_PS1_.has_indirect_call, 0
	.section	.AMDGPU.csdata,"",@progbits
; Kernel info:
; codeLenInByte = 292
; TotalNumSgprs: 11
; NumVgprs: 19
; ScratchSize: 0
; MemoryBound: 0
; FloatMode: 240
; IeeeMode: 1
; LDSByteSize: 2048 bytes/workgroup (compile time only)
; SGPRBlocks: 1
; VGPRBlocks: 4
; NumSGPRsForWavesPerEU: 11
; NumVGPRsForWavesPerEU: 19
; Occupancy: 10
; WaveLimiterHint : 0
; COMPUTE_PGM_RSRC2:SCRATCH_EN: 0
; COMPUTE_PGM_RSRC2:USER_SGPR: 6
; COMPUTE_PGM_RSRC2:TRAP_HANDLER: 0
; COMPUTE_PGM_RSRC2:TGID_X_EN: 1
; COMPUTE_PGM_RSRC2:TGID_Y_EN: 0
; COMPUTE_PGM_RSRC2:TGID_Z_EN: 0
; COMPUTE_PGM_RSRC2:TIDIG_COMP_CNT: 0
	.section	.text._Z6kernelI2updLj256ELj4ELj100EEvPKT0_PS1_,"axG",@progbits,_Z6kernelI2updLj256ELj4ELj100EEvPKT0_PS1_,comdat
	.protected	_Z6kernelI2updLj256ELj4ELj100EEvPKT0_PS1_ ; -- Begin function _Z6kernelI2updLj256ELj4ELj100EEvPKT0_PS1_
	.globl	_Z6kernelI2updLj256ELj4ELj100EEvPKT0_PS1_
	.p2align	8
	.type	_Z6kernelI2updLj256ELj4ELj100EEvPKT0_PS1_,@function
_Z6kernelI2updLj256ELj4ELj100EEvPKT0_PS1_: ; @_Z6kernelI2updLj256ELj4ELj100EEvPKT0_PS1_
; %bb.0:
	s_load_dwordx4 s[0:3], s[4:5], 0x0
	v_lshlrev_b32_e32 v1, 2, v0
	v_lshl_or_b32 v1, s6, 10, v1
	v_mov_b32_e32 v2, 0
	v_lshlrev_b64 v[9:10], 3, v[1:2]
	s_waitcnt lgkmcnt(0)
	v_mov_b32_e32 v1, s1
	v_add_co_u32_e32 v11, vcc, s0, v9
	v_addc_co_u32_e32 v12, vcc, v1, v10, vcc
	global_load_dwordx4 v[1:4], v[11:12], off offset:16
	global_load_dwordx4 v[5:8], v[11:12], off
	v_lshlrev_b32_e32 v13, 3, v0
	v_cmp_ne_u32_e32 vcc, 0, v0
	v_add_u32_e32 v0, -8, v13
	s_movk_i32 s4, 0x64
.LBB28_1:                               ; =>This Inner Loop Header: Depth=1
	s_waitcnt vmcnt(1)
	v_mov_b32_e32 v12, v2
	v_mov_b32_e32 v11, v1
	s_waitcnt vmcnt(0)
	v_mov_b32_e32 v1, v7
	v_mov_b32_e32 v2, v8
	;; [unrolled: 1-line block ×4, first 2 shown]
	ds_write_b64 v13, v[3:4]
	s_waitcnt lgkmcnt(0)
	s_barrier
	s_and_saveexec_b64 s[0:1], vcc
; %bb.2:                                ;   in Loop: Header=BB28_1 Depth=1
	ds_read_b64 v[5:6], v0
; %bb.3:                                ;   in Loop: Header=BB28_1 Depth=1
	s_or_b64 exec, exec, s[0:1]
	s_add_i32 s4, s4, -1
	s_cmp_lg_u32 s4, 0
	s_waitcnt lgkmcnt(0)
	s_barrier
	s_cbranch_scc0 .LBB28_5
; %bb.4:                                ;   in Loop: Header=BB28_1 Depth=1
	v_mov_b32_e32 v3, v11
	v_mov_b32_e32 v4, v12
	s_branch .LBB28_1
.LBB28_5:
	v_mov_b32_e32 v0, s3
	v_add_co_u32_e32 v9, vcc, s2, v9
	v_addc_co_u32_e32 v10, vcc, v0, v10, vcc
	v_mov_b32_e32 v3, v11
	v_mov_b32_e32 v4, v12
	global_store_dwordx4 v[9:10], v[5:8], off
	global_store_dwordx4 v[9:10], v[1:4], off offset:16
	s_endpgm
	.section	.rodata,"a",@progbits
	.p2align	6, 0x0
	.amdhsa_kernel _Z6kernelI2updLj256ELj4ELj100EEvPKT0_PS1_
		.amdhsa_group_segment_fixed_size 2048
		.amdhsa_private_segment_fixed_size 0
		.amdhsa_kernarg_size 16
		.amdhsa_user_sgpr_count 6
		.amdhsa_user_sgpr_private_segment_buffer 1
		.amdhsa_user_sgpr_dispatch_ptr 0
		.amdhsa_user_sgpr_queue_ptr 0
		.amdhsa_user_sgpr_kernarg_segment_ptr 1
		.amdhsa_user_sgpr_dispatch_id 0
		.amdhsa_user_sgpr_flat_scratch_init 0
		.amdhsa_user_sgpr_private_segment_size 0
		.amdhsa_uses_dynamic_stack 0
		.amdhsa_system_sgpr_private_segment_wavefront_offset 0
		.amdhsa_system_sgpr_workgroup_id_x 1
		.amdhsa_system_sgpr_workgroup_id_y 0
		.amdhsa_system_sgpr_workgroup_id_z 0
		.amdhsa_system_sgpr_workgroup_info 0
		.amdhsa_system_vgpr_workitem_id 0
		.amdhsa_next_free_vgpr 14
		.amdhsa_next_free_sgpr 7
		.amdhsa_reserve_vcc 1
		.amdhsa_reserve_flat_scratch 0
		.amdhsa_float_round_mode_32 0
		.amdhsa_float_round_mode_16_64 0
		.amdhsa_float_denorm_mode_32 3
		.amdhsa_float_denorm_mode_16_64 3
		.amdhsa_dx10_clamp 1
		.amdhsa_ieee_mode 1
		.amdhsa_fp16_overflow 0
		.amdhsa_exception_fp_ieee_invalid_op 0
		.amdhsa_exception_fp_denorm_src 0
		.amdhsa_exception_fp_ieee_div_zero 0
		.amdhsa_exception_fp_ieee_overflow 0
		.amdhsa_exception_fp_ieee_underflow 0
		.amdhsa_exception_fp_ieee_inexact 0
		.amdhsa_exception_int_div_zero 0
	.end_amdhsa_kernel
	.section	.text._Z6kernelI2updLj256ELj4ELj100EEvPKT0_PS1_,"axG",@progbits,_Z6kernelI2updLj256ELj4ELj100EEvPKT0_PS1_,comdat
.Lfunc_end28:
	.size	_Z6kernelI2updLj256ELj4ELj100EEvPKT0_PS1_, .Lfunc_end28-_Z6kernelI2updLj256ELj4ELj100EEvPKT0_PS1_
                                        ; -- End function
	.set _Z6kernelI2updLj256ELj4ELj100EEvPKT0_PS1_.num_vgpr, 14
	.set _Z6kernelI2updLj256ELj4ELj100EEvPKT0_PS1_.num_agpr, 0
	.set _Z6kernelI2updLj256ELj4ELj100EEvPKT0_PS1_.numbered_sgpr, 7
	.set _Z6kernelI2updLj256ELj4ELj100EEvPKT0_PS1_.num_named_barrier, 0
	.set _Z6kernelI2updLj256ELj4ELj100EEvPKT0_PS1_.private_seg_size, 0
	.set _Z6kernelI2updLj256ELj4ELj100EEvPKT0_PS1_.uses_vcc, 1
	.set _Z6kernelI2updLj256ELj4ELj100EEvPKT0_PS1_.uses_flat_scratch, 0
	.set _Z6kernelI2updLj256ELj4ELj100EEvPKT0_PS1_.has_dyn_sized_stack, 0
	.set _Z6kernelI2updLj256ELj4ELj100EEvPKT0_PS1_.has_recursion, 0
	.set _Z6kernelI2updLj256ELj4ELj100EEvPKT0_PS1_.has_indirect_call, 0
	.section	.AMDGPU.csdata,"",@progbits
; Kernel info:
; codeLenInByte = 216
; TotalNumSgprs: 11
; NumVgprs: 14
; ScratchSize: 0
; MemoryBound: 0
; FloatMode: 240
; IeeeMode: 1
; LDSByteSize: 2048 bytes/workgroup (compile time only)
; SGPRBlocks: 1
; VGPRBlocks: 3
; NumSGPRsForWavesPerEU: 11
; NumVGPRsForWavesPerEU: 14
; Occupancy: 10
; WaveLimiterHint : 0
; COMPUTE_PGM_RSRC2:SCRATCH_EN: 0
; COMPUTE_PGM_RSRC2:USER_SGPR: 6
; COMPUTE_PGM_RSRC2:TRAP_HANDLER: 0
; COMPUTE_PGM_RSRC2:TGID_X_EN: 1
; COMPUTE_PGM_RSRC2:TGID_Y_EN: 0
; COMPUTE_PGM_RSRC2:TGID_Z_EN: 0
; COMPUTE_PGM_RSRC2:TIDIG_COMP_CNT: 0
	.section	.text._Z6kernelI2updLj256ELj8ELj100EEvPKT0_PS1_,"axG",@progbits,_Z6kernelI2updLj256ELj8ELj100EEvPKT0_PS1_,comdat
	.protected	_Z6kernelI2updLj256ELj8ELj100EEvPKT0_PS1_ ; -- Begin function _Z6kernelI2updLj256ELj8ELj100EEvPKT0_PS1_
	.globl	_Z6kernelI2updLj256ELj8ELj100EEvPKT0_PS1_
	.p2align	8
	.type	_Z6kernelI2updLj256ELj8ELj100EEvPKT0_PS1_,@function
_Z6kernelI2updLj256ELj8ELj100EEvPKT0_PS1_: ; @_Z6kernelI2updLj256ELj8ELj100EEvPKT0_PS1_
; %bb.0:
	s_load_dwordx4 s[0:3], s[4:5], 0x0
	v_lshlrev_b32_e32 v21, 3, v0
	v_lshl_or_b32 v1, s6, 11, v21
	v_mov_b32_e32 v2, 0
	v_lshlrev_b64 v[19:20], 3, v[1:2]
	s_waitcnt lgkmcnt(0)
	v_mov_b32_e32 v1, s1
	v_add_co_u32_e32 v17, vcc, s0, v19
	v_addc_co_u32_e32 v18, vcc, v1, v20, vcc
	global_load_dwordx4 v[1:4], v[17:18], off offset:48
	global_load_dwordx4 v[5:8], v[17:18], off offset:32
	;; [unrolled: 1-line block ×3, first 2 shown]
	global_load_dwordx4 v[13:16], v[17:18], off
	v_cmp_ne_u32_e32 vcc, 0, v0
	v_add_u32_e32 v0, -8, v21
	s_movk_i32 s4, 0x64
.LBB29_1:                               ; =>This Inner Loop Header: Depth=1
	s_waitcnt vmcnt(0)
	v_mov_b32_e32 v18, v14
	v_mov_b32_e32 v17, v13
	ds_write_b64 v21, v[3:4]
	s_waitcnt lgkmcnt(0)
	s_barrier
	s_and_saveexec_b64 s[0:1], vcc
; %bb.2:                                ;   in Loop: Header=BB29_1 Depth=1
	ds_read_b64 v[17:18], v0
; %bb.3:                                ;   in Loop: Header=BB29_1 Depth=1
	s_or_b64 exec, exec, s[0:1]
	s_add_i32 s4, s4, -1
	s_cmp_lg_u32 s4, 0
	s_waitcnt lgkmcnt(0)
	s_barrier
	s_cbranch_scc0 .LBB29_5
; %bb.4:                                ;   in Loop: Header=BB29_1 Depth=1
	v_mov_b32_e32 v4, v2
	v_mov_b32_e32 v3, v1
	v_mov_b32_e32 v1, v7
	v_mov_b32_e32 v2, v8
	v_mov_b32_e32 v8, v6
	v_mov_b32_e32 v7, v5
	v_mov_b32_e32 v5, v11
	v_mov_b32_e32 v6, v12
	v_mov_b32_e32 v12, v10
	v_mov_b32_e32 v11, v9
	v_mov_b32_e32 v9, v15
	v_mov_b32_e32 v10, v16
	v_mov_b32_e32 v16, v14
	v_mov_b32_e32 v15, v13
	v_mov_b32_e32 v13, v17
	v_mov_b32_e32 v14, v18
	s_branch .LBB29_1
.LBB29_5:
	v_mov_b32_e32 v0, s3
	v_add_co_u32_e32 v21, vcc, s2, v19
	v_addc_co_u32_e32 v22, vcc, v0, v20, vcc
	v_mov_b32_e32 v3, v11
	v_mov_b32_e32 v4, v12
	v_mov_b32_e32 v19, v13
	v_mov_b32_e32 v20, v14
	v_mov_b32_e32 v13, v15
	v_mov_b32_e32 v14, v16
	v_mov_b32_e32 v15, v9
	v_mov_b32_e32 v16, v10
	global_store_dwordx4 v[21:22], v[3:6], off offset:32
	global_store_dwordx4 v[21:22], v[17:20], off
	v_mov_b32_e32 v3, v7
	v_mov_b32_e32 v4, v8
	;; [unrolled: 1-line block ×4, first 2 shown]
	global_store_dwordx4 v[21:22], v[13:16], off offset:16
	global_store_dwordx4 v[21:22], v[3:6], off offset:48
	s_endpgm
	.section	.rodata,"a",@progbits
	.p2align	6, 0x0
	.amdhsa_kernel _Z6kernelI2updLj256ELj8ELj100EEvPKT0_PS1_
		.amdhsa_group_segment_fixed_size 2048
		.amdhsa_private_segment_fixed_size 0
		.amdhsa_kernarg_size 16
		.amdhsa_user_sgpr_count 6
		.amdhsa_user_sgpr_private_segment_buffer 1
		.amdhsa_user_sgpr_dispatch_ptr 0
		.amdhsa_user_sgpr_queue_ptr 0
		.amdhsa_user_sgpr_kernarg_segment_ptr 1
		.amdhsa_user_sgpr_dispatch_id 0
		.amdhsa_user_sgpr_flat_scratch_init 0
		.amdhsa_user_sgpr_private_segment_size 0
		.amdhsa_uses_dynamic_stack 0
		.amdhsa_system_sgpr_private_segment_wavefront_offset 0
		.amdhsa_system_sgpr_workgroup_id_x 1
		.amdhsa_system_sgpr_workgroup_id_y 0
		.amdhsa_system_sgpr_workgroup_id_z 0
		.amdhsa_system_sgpr_workgroup_info 0
		.amdhsa_system_vgpr_workitem_id 0
		.amdhsa_next_free_vgpr 23
		.amdhsa_next_free_sgpr 7
		.amdhsa_reserve_vcc 1
		.amdhsa_reserve_flat_scratch 0
		.amdhsa_float_round_mode_32 0
		.amdhsa_float_round_mode_16_64 0
		.amdhsa_float_denorm_mode_32 3
		.amdhsa_float_denorm_mode_16_64 3
		.amdhsa_dx10_clamp 1
		.amdhsa_ieee_mode 1
		.amdhsa_fp16_overflow 0
		.amdhsa_exception_fp_ieee_invalid_op 0
		.amdhsa_exception_fp_denorm_src 0
		.amdhsa_exception_fp_ieee_div_zero 0
		.amdhsa_exception_fp_ieee_overflow 0
		.amdhsa_exception_fp_ieee_underflow 0
		.amdhsa_exception_fp_ieee_inexact 0
		.amdhsa_exception_int_div_zero 0
	.end_amdhsa_kernel
	.section	.text._Z6kernelI2updLj256ELj8ELj100EEvPKT0_PS1_,"axG",@progbits,_Z6kernelI2updLj256ELj8ELj100EEvPKT0_PS1_,comdat
.Lfunc_end29:
	.size	_Z6kernelI2updLj256ELj8ELj100EEvPKT0_PS1_, .Lfunc_end29-_Z6kernelI2updLj256ELj8ELj100EEvPKT0_PS1_
                                        ; -- End function
	.set _Z6kernelI2updLj256ELj8ELj100EEvPKT0_PS1_.num_vgpr, 23
	.set _Z6kernelI2updLj256ELj8ELj100EEvPKT0_PS1_.num_agpr, 0
	.set _Z6kernelI2updLj256ELj8ELj100EEvPKT0_PS1_.numbered_sgpr, 7
	.set _Z6kernelI2updLj256ELj8ELj100EEvPKT0_PS1_.num_named_barrier, 0
	.set _Z6kernelI2updLj256ELj8ELj100EEvPKT0_PS1_.private_seg_size, 0
	.set _Z6kernelI2updLj256ELj8ELj100EEvPKT0_PS1_.uses_vcc, 1
	.set _Z6kernelI2updLj256ELj8ELj100EEvPKT0_PS1_.uses_flat_scratch, 0
	.set _Z6kernelI2updLj256ELj8ELj100EEvPKT0_PS1_.has_dyn_sized_stack, 0
	.set _Z6kernelI2updLj256ELj8ELj100EEvPKT0_PS1_.has_recursion, 0
	.set _Z6kernelI2updLj256ELj8ELj100EEvPKT0_PS1_.has_indirect_call, 0
	.section	.AMDGPU.csdata,"",@progbits
; Kernel info:
; codeLenInByte = 320
; TotalNumSgprs: 11
; NumVgprs: 23
; ScratchSize: 0
; MemoryBound: 1
; FloatMode: 240
; IeeeMode: 1
; LDSByteSize: 2048 bytes/workgroup (compile time only)
; SGPRBlocks: 1
; VGPRBlocks: 5
; NumSGPRsForWavesPerEU: 11
; NumVGPRsForWavesPerEU: 23
; Occupancy: 10
; WaveLimiterHint : 0
; COMPUTE_PGM_RSRC2:SCRATCH_EN: 0
; COMPUTE_PGM_RSRC2:USER_SGPR: 6
; COMPUTE_PGM_RSRC2:TRAP_HANDLER: 0
; COMPUTE_PGM_RSRC2:TGID_X_EN: 1
; COMPUTE_PGM_RSRC2:TGID_Y_EN: 0
; COMPUTE_PGM_RSRC2:TGID_Z_EN: 0
; COMPUTE_PGM_RSRC2:TIDIG_COMP_CNT: 0
	.section	.text._Z6kernelI2updLj256ELj16ELj100EEvPKT0_PS1_,"axG",@progbits,_Z6kernelI2updLj256ELj16ELj100EEvPKT0_PS1_,comdat
	.protected	_Z6kernelI2updLj256ELj16ELj100EEvPKT0_PS1_ ; -- Begin function _Z6kernelI2updLj256ELj16ELj100EEvPKT0_PS1_
	.globl	_Z6kernelI2updLj256ELj16ELj100EEvPKT0_PS1_
	.p2align	8
	.type	_Z6kernelI2updLj256ELj16ELj100EEvPKT0_PS1_,@function
_Z6kernelI2updLj256ELj16ELj100EEvPKT0_PS1_: ; @_Z6kernelI2updLj256ELj16ELj100EEvPKT0_PS1_
; %bb.0:
	s_load_dwordx4 s[0:3], s[4:5], 0x0
	v_lshlrev_b32_e32 v1, 4, v0
	v_lshl_or_b32 v1, s6, 12, v1
	v_mov_b32_e32 v2, 0
	v_lshlrev_b64 v[35:36], 3, v[1:2]
	s_waitcnt lgkmcnt(0)
	v_mov_b32_e32 v1, s1
	v_add_co_u32_e32 v33, vcc, s0, v35
	v_addc_co_u32_e32 v34, vcc, v1, v36, vcc
	global_load_dwordx4 v[1:4], v[33:34], off offset:48
	global_load_dwordx4 v[5:8], v[33:34], off offset:32
	global_load_dwordx4 v[25:28], v[33:34], off offset:16
	global_load_dwordx4 v[29:32], v[33:34], off
	global_load_dwordx4 v[9:12], v[33:34], off offset:112
	global_load_dwordx4 v[13:16], v[33:34], off offset:96
	;; [unrolled: 1-line block ×4, first 2 shown]
	v_lshlrev_b32_e32 v37, 3, v0
	v_cmp_ne_u32_e32 vcc, 0, v0
	v_add_u32_e32 v0, -8, v37
	s_movk_i32 s4, 0x64
.LBB30_1:                               ; =>This Inner Loop Header: Depth=1
	s_waitcnt vmcnt(4)
	v_mov_b32_e32 v34, v30
	v_mov_b32_e32 v33, v29
	s_waitcnt vmcnt(3)
	ds_write_b64 v37, v[11:12]
	s_waitcnt vmcnt(0) lgkmcnt(0)
	s_barrier
	s_and_saveexec_b64 s[0:1], vcc
; %bb.2:                                ;   in Loop: Header=BB30_1 Depth=1
	ds_read_b64 v[33:34], v0
; %bb.3:                                ;   in Loop: Header=BB30_1 Depth=1
	s_or_b64 exec, exec, s[0:1]
	s_add_i32 s4, s4, -1
	s_cmp_lg_u32 s4, 0
	s_waitcnt lgkmcnt(0)
	s_barrier
	s_cbranch_scc0 .LBB30_5
; %bb.4:                                ;   in Loop: Header=BB30_1 Depth=1
	v_mov_b32_e32 v12, v10
	v_mov_b32_e32 v11, v9
	;; [unrolled: 1-line block ×32, first 2 shown]
	s_branch .LBB30_1
.LBB30_5:
	v_mov_b32_e32 v0, s3
	v_add_co_u32_e32 v11, vcc, s2, v35
	v_addc_co_u32_e32 v12, vcc, v0, v36, vcc
	v_mov_b32_e32 v35, v29
	v_mov_b32_e32 v36, v30
	;; [unrolled: 1-line block ×18, first 2 shown]
	global_store_dwordx4 v[11:12], v[0:3], off offset:64
	global_store_dwordx4 v[11:12], v[33:36], off
	v_mov_b32_e32 v0, v23
	v_mov_b32_e32 v1, v24
	v_mov_b32_e32 v2, v17
	v_mov_b32_e32 v3, v18
	global_store_dwordx4 v[11:12], v[0:3], off offset:80
	global_store_dwordx4 v[11:12], v[29:32], off offset:16
	v_mov_b32_e32 v0, v19
	v_mov_b32_e32 v1, v20
	v_mov_b32_e32 v2, v13
	v_mov_b32_e32 v3, v14
	global_store_dwordx4 v[11:12], v[0:3], off offset:96
	global_store_dwordx4 v[11:12], v[25:28], off offset:32
	;; [unrolled: 6-line block ×3, first 2 shown]
	s_endpgm
	.section	.rodata,"a",@progbits
	.p2align	6, 0x0
	.amdhsa_kernel _Z6kernelI2updLj256ELj16ELj100EEvPKT0_PS1_
		.amdhsa_group_segment_fixed_size 2048
		.amdhsa_private_segment_fixed_size 0
		.amdhsa_kernarg_size 16
		.amdhsa_user_sgpr_count 6
		.amdhsa_user_sgpr_private_segment_buffer 1
		.amdhsa_user_sgpr_dispatch_ptr 0
		.amdhsa_user_sgpr_queue_ptr 0
		.amdhsa_user_sgpr_kernarg_segment_ptr 1
		.amdhsa_user_sgpr_dispatch_id 0
		.amdhsa_user_sgpr_flat_scratch_init 0
		.amdhsa_user_sgpr_private_segment_size 0
		.amdhsa_uses_dynamic_stack 0
		.amdhsa_system_sgpr_private_segment_wavefront_offset 0
		.amdhsa_system_sgpr_workgroup_id_x 1
		.amdhsa_system_sgpr_workgroup_id_y 0
		.amdhsa_system_sgpr_workgroup_id_z 0
		.amdhsa_system_sgpr_workgroup_info 0
		.amdhsa_system_vgpr_workitem_id 0
		.amdhsa_next_free_vgpr 38
		.amdhsa_next_free_sgpr 7
		.amdhsa_reserve_vcc 1
		.amdhsa_reserve_flat_scratch 0
		.amdhsa_float_round_mode_32 0
		.amdhsa_float_round_mode_16_64 0
		.amdhsa_float_denorm_mode_32 3
		.amdhsa_float_denorm_mode_16_64 3
		.amdhsa_dx10_clamp 1
		.amdhsa_ieee_mode 1
		.amdhsa_fp16_overflow 0
		.amdhsa_exception_fp_ieee_invalid_op 0
		.amdhsa_exception_fp_denorm_src 0
		.amdhsa_exception_fp_ieee_div_zero 0
		.amdhsa_exception_fp_ieee_overflow 0
		.amdhsa_exception_fp_ieee_underflow 0
		.amdhsa_exception_fp_ieee_inexact 0
		.amdhsa_exception_int_div_zero 0
	.end_amdhsa_kernel
	.section	.text._Z6kernelI2updLj256ELj16ELj100EEvPKT0_PS1_,"axG",@progbits,_Z6kernelI2updLj256ELj16ELj100EEvPKT0_PS1_,comdat
.Lfunc_end30:
	.size	_Z6kernelI2updLj256ELj16ELj100EEvPKT0_PS1_, .Lfunc_end30-_Z6kernelI2updLj256ELj16ELj100EEvPKT0_PS1_
                                        ; -- End function
	.set _Z6kernelI2updLj256ELj16ELj100EEvPKT0_PS1_.num_vgpr, 38
	.set _Z6kernelI2updLj256ELj16ELj100EEvPKT0_PS1_.num_agpr, 0
	.set _Z6kernelI2updLj256ELj16ELj100EEvPKT0_PS1_.numbered_sgpr, 7
	.set _Z6kernelI2updLj256ELj16ELj100EEvPKT0_PS1_.num_named_barrier, 0
	.set _Z6kernelI2updLj256ELj16ELj100EEvPKT0_PS1_.private_seg_size, 0
	.set _Z6kernelI2updLj256ELj16ELj100EEvPKT0_PS1_.uses_vcc, 1
	.set _Z6kernelI2updLj256ELj16ELj100EEvPKT0_PS1_.uses_flat_scratch, 0
	.set _Z6kernelI2updLj256ELj16ELj100EEvPKT0_PS1_.has_dyn_sized_stack, 0
	.set _Z6kernelI2updLj256ELj16ELj100EEvPKT0_PS1_.has_recursion, 0
	.set _Z6kernelI2updLj256ELj16ELj100EEvPKT0_PS1_.has_indirect_call, 0
	.section	.AMDGPU.csdata,"",@progbits
; Kernel info:
; codeLenInByte = 528
; TotalNumSgprs: 11
; NumVgprs: 38
; ScratchSize: 0
; MemoryBound: 1
; FloatMode: 240
; IeeeMode: 1
; LDSByteSize: 2048 bytes/workgroup (compile time only)
; SGPRBlocks: 1
; VGPRBlocks: 9
; NumSGPRsForWavesPerEU: 11
; NumVGPRsForWavesPerEU: 38
; Occupancy: 6
; WaveLimiterHint : 0
; COMPUTE_PGM_RSRC2:SCRATCH_EN: 0
; COMPUTE_PGM_RSRC2:USER_SGPR: 6
; COMPUTE_PGM_RSRC2:TRAP_HANDLER: 0
; COMPUTE_PGM_RSRC2:TGID_X_EN: 1
; COMPUTE_PGM_RSRC2:TGID_Y_EN: 0
; COMPUTE_PGM_RSRC2:TGID_Z_EN: 0
; COMPUTE_PGM_RSRC2:TIDIG_COMP_CNT: 0
	.section	.text._Z6kernelI2updLj256ELj32ELj100EEvPKT0_PS1_,"axG",@progbits,_Z6kernelI2updLj256ELj32ELj100EEvPKT0_PS1_,comdat
	.protected	_Z6kernelI2updLj256ELj32ELj100EEvPKT0_PS1_ ; -- Begin function _Z6kernelI2updLj256ELj32ELj100EEvPKT0_PS1_
	.globl	_Z6kernelI2updLj256ELj32ELj100EEvPKT0_PS1_
	.p2align	8
	.type	_Z6kernelI2updLj256ELj32ELj100EEvPKT0_PS1_,@function
_Z6kernelI2updLj256ELj32ELj100EEvPKT0_PS1_: ; @_Z6kernelI2updLj256ELj32ELj100EEvPKT0_PS1_
; %bb.0:
	s_load_dwordx4 s[0:3], s[4:5], 0x0
	v_lshlrev_b32_e32 v1, 5, v0
	v_lshl_or_b32 v1, s6, 13, v1
	v_mov_b32_e32 v2, 0
	v_lshlrev_b64 v[67:68], 3, v[1:2]
	s_waitcnt lgkmcnt(0)
	v_mov_b32_e32 v1, s1
	v_add_co_u32_e32 v25, vcc, s0, v67
	v_addc_co_u32_e32 v26, vcc, v1, v68, vcc
	global_load_dwordx4 v[1:4], v[25:26], off offset:48
	global_load_dwordx4 v[5:8], v[25:26], off offset:32
	;; [unrolled: 1-line block ×3, first 2 shown]
	global_load_dwordx4 v[61:64], v[25:26], off
	global_load_dwordx4 v[37:40], v[25:26], off offset:112
	global_load_dwordx4 v[45:48], v[25:26], off offset:96
	;; [unrolled: 1-line block ×11, first 2 shown]
	s_nop 0
	global_load_dwordx4 v[25:28], v[25:26], off offset:192
	v_lshlrev_b32_e32 v69, 3, v0
	v_cmp_ne_u32_e32 vcc, 0, v0
	v_add_u32_e32 v0, -8, v69
	s_movk_i32 s4, 0x64
.LBB31_1:                               ; =>This Inner Loop Header: Depth=1
	s_waitcnt vmcnt(12)
	v_mov_b32_e32 v66, v62
	v_mov_b32_e32 v65, v61
	s_waitcnt vmcnt(3)
	ds_write_b64 v69, v[11:12]
	s_waitcnt vmcnt(0) lgkmcnt(0)
	s_barrier
	s_and_saveexec_b64 s[0:1], vcc
; %bb.2:                                ;   in Loop: Header=BB31_1 Depth=1
	ds_read_b64 v[65:66], v0
; %bb.3:                                ;   in Loop: Header=BB31_1 Depth=1
	s_or_b64 exec, exec, s[0:1]
	s_add_i32 s4, s4, -1
	s_cmp_lg_u32 s4, 0
	s_waitcnt lgkmcnt(0)
	s_barrier
	s_cbranch_scc0 .LBB31_5
; %bb.4:                                ;   in Loop: Header=BB31_1 Depth=1
	v_mov_b32_e32 v12, v10
	v_mov_b32_e32 v11, v9
	;; [unrolled: 1-line block ×64, first 2 shown]
	s_branch .LBB31_1
.LBB31_5:
	v_mov_b32_e32 v0, s3
	v_add_co_u32_e32 v11, vcc, s2, v67
	v_addc_co_u32_e32 v12, vcc, v0, v68, vcc
	v_mov_b32_e32 v67, v61
	v_mov_b32_e32 v68, v62
	;; [unrolled: 1-line block ×18, first 2 shown]
	global_store_dwordx4 v[11:12], v[0:3], off offset:64
	global_store_dwordx4 v[11:12], v[65:68], off
	v_mov_b32_e32 v0, v55
	v_mov_b32_e32 v1, v56
	v_mov_b32_e32 v2, v49
	v_mov_b32_e32 v3, v50
	global_store_dwordx4 v[11:12], v[0:3], off offset:80
	global_store_dwordx4 v[11:12], v[61:64], off offset:16
	v_mov_b32_e32 v0, v51
	v_mov_b32_e32 v1, v52
	v_mov_b32_e32 v2, v45
	v_mov_b32_e32 v3, v46
	global_store_dwordx4 v[11:12], v[0:3], off offset:96
	global_store_dwordx4 v[11:12], v[57:60], off offset:32
	;; [unrolled: 6-line block ×3, first 2 shown]
	v_mov_b32_e32 v0, v39
	v_mov_b32_e32 v1, v40
	v_mov_b32_e32 v2, v41
	v_mov_b32_e32 v3, v42
	global_store_dwordx4 v[11:12], v[0:3], off offset:128
	s_nop 0
	v_mov_b32_e32 v0, v43
	v_mov_b32_e32 v1, v44
	v_mov_b32_e32 v2, v33
	v_mov_b32_e32 v3, v34
	global_store_dwordx4 v[11:12], v[0:3], off offset:144
	s_nop 0
	;; [unrolled: 6-line block ×7, first 2 shown]
	v_mov_b32_e32 v0, v15
	v_mov_b32_e32 v1, v16
	;; [unrolled: 1-line block ×4, first 2 shown]
	global_store_dwordx4 v[11:12], v[0:3], off offset:240
	s_endpgm
	.section	.rodata,"a",@progbits
	.p2align	6, 0x0
	.amdhsa_kernel _Z6kernelI2updLj256ELj32ELj100EEvPKT0_PS1_
		.amdhsa_group_segment_fixed_size 2048
		.amdhsa_private_segment_fixed_size 0
		.amdhsa_kernarg_size 16
		.amdhsa_user_sgpr_count 6
		.amdhsa_user_sgpr_private_segment_buffer 1
		.amdhsa_user_sgpr_dispatch_ptr 0
		.amdhsa_user_sgpr_queue_ptr 0
		.amdhsa_user_sgpr_kernarg_segment_ptr 1
		.amdhsa_user_sgpr_dispatch_id 0
		.amdhsa_user_sgpr_flat_scratch_init 0
		.amdhsa_user_sgpr_private_segment_size 0
		.amdhsa_uses_dynamic_stack 0
		.amdhsa_system_sgpr_private_segment_wavefront_offset 0
		.amdhsa_system_sgpr_workgroup_id_x 1
		.amdhsa_system_sgpr_workgroup_id_y 0
		.amdhsa_system_sgpr_workgroup_id_z 0
		.amdhsa_system_sgpr_workgroup_info 0
		.amdhsa_system_vgpr_workitem_id 0
		.amdhsa_next_free_vgpr 70
		.amdhsa_next_free_sgpr 7
		.amdhsa_reserve_vcc 1
		.amdhsa_reserve_flat_scratch 0
		.amdhsa_float_round_mode_32 0
		.amdhsa_float_round_mode_16_64 0
		.amdhsa_float_denorm_mode_32 3
		.amdhsa_float_denorm_mode_16_64 3
		.amdhsa_dx10_clamp 1
		.amdhsa_ieee_mode 1
		.amdhsa_fp16_overflow 0
		.amdhsa_exception_fp_ieee_invalid_op 0
		.amdhsa_exception_fp_denorm_src 0
		.amdhsa_exception_fp_ieee_div_zero 0
		.amdhsa_exception_fp_ieee_overflow 0
		.amdhsa_exception_fp_ieee_underflow 0
		.amdhsa_exception_fp_ieee_inexact 0
		.amdhsa_exception_int_div_zero 0
	.end_amdhsa_kernel
	.section	.text._Z6kernelI2updLj256ELj32ELj100EEvPKT0_PS1_,"axG",@progbits,_Z6kernelI2updLj256ELj32ELj100EEvPKT0_PS1_,comdat
.Lfunc_end31:
	.size	_Z6kernelI2updLj256ELj32ELj100EEvPKT0_PS1_, .Lfunc_end31-_Z6kernelI2updLj256ELj32ELj100EEvPKT0_PS1_
                                        ; -- End function
	.set _Z6kernelI2updLj256ELj32ELj100EEvPKT0_PS1_.num_vgpr, 70
	.set _Z6kernelI2updLj256ELj32ELj100EEvPKT0_PS1_.num_agpr, 0
	.set _Z6kernelI2updLj256ELj32ELj100EEvPKT0_PS1_.numbered_sgpr, 7
	.set _Z6kernelI2updLj256ELj32ELj100EEvPKT0_PS1_.num_named_barrier, 0
	.set _Z6kernelI2updLj256ELj32ELj100EEvPKT0_PS1_.private_seg_size, 0
	.set _Z6kernelI2updLj256ELj32ELj100EEvPKT0_PS1_.uses_vcc, 1
	.set _Z6kernelI2updLj256ELj32ELj100EEvPKT0_PS1_.uses_flat_scratch, 0
	.set _Z6kernelI2updLj256ELj32ELj100EEvPKT0_PS1_.has_dyn_sized_stack, 0
	.set _Z6kernelI2updLj256ELj32ELj100EEvPKT0_PS1_.has_recursion, 0
	.set _Z6kernelI2updLj256ELj32ELj100EEvPKT0_PS1_.has_indirect_call, 0
	.section	.AMDGPU.csdata,"",@progbits
; Kernel info:
; codeLenInByte = 944
; TotalNumSgprs: 11
; NumVgprs: 70
; ScratchSize: 0
; MemoryBound: 1
; FloatMode: 240
; IeeeMode: 1
; LDSByteSize: 2048 bytes/workgroup (compile time only)
; SGPRBlocks: 1
; VGPRBlocks: 17
; NumSGPRsForWavesPerEU: 11
; NumVGPRsForWavesPerEU: 70
; Occupancy: 3
; WaveLimiterHint : 0
; COMPUTE_PGM_RSRC2:SCRATCH_EN: 0
; COMPUTE_PGM_RSRC2:USER_SGPR: 6
; COMPUTE_PGM_RSRC2:TRAP_HANDLER: 0
; COMPUTE_PGM_RSRC2:TGID_X_EN: 1
; COMPUTE_PGM_RSRC2:TGID_Y_EN: 0
; COMPUTE_PGM_RSRC2:TGID_Z_EN: 0
; COMPUTE_PGM_RSRC2:TIDIG_COMP_CNT: 0
	.section	.text._Z6kernelI2upaLj256ELj1ELj100EEvPKT0_PS1_,"axG",@progbits,_Z6kernelI2upaLj256ELj1ELj100EEvPKT0_PS1_,comdat
	.protected	_Z6kernelI2upaLj256ELj1ELj100EEvPKT0_PS1_ ; -- Begin function _Z6kernelI2upaLj256ELj1ELj100EEvPKT0_PS1_
	.globl	_Z6kernelI2upaLj256ELj1ELj100EEvPKT0_PS1_
	.p2align	8
	.type	_Z6kernelI2upaLj256ELj1ELj100EEvPKT0_PS1_,@function
_Z6kernelI2upaLj256ELj1ELj100EEvPKT0_PS1_: ; @_Z6kernelI2upaLj256ELj1ELj100EEvPKT0_PS1_
; %bb.0:
	s_load_dwordx4 s[0:3], s[4:5], 0x0
	v_lshl_or_b32 v2, s6, 8, v0
	v_cmp_ne_u32_e32 vcc, 0, v0
	v_add_u32_e32 v3, -1, v0
	s_movk_i32 s4, 0x64
	s_waitcnt lgkmcnt(0)
	global_load_ubyte v1, v2, s[0:1]
	s_branch .LBB32_2
.LBB32_1:                               ;   in Loop: Header=BB32_2 Depth=1
	s_or_b64 exec, exec, s[0:1]
	s_add_i32 s4, s4, -1
	s_cmp_lg_u32 s4, 0
	s_waitcnt lgkmcnt(0)
	s_barrier
	s_cbranch_scc0 .LBB32_4
.LBB32_2:                               ; =>This Inner Loop Header: Depth=1
	s_waitcnt vmcnt(0)
	ds_write_b8 v0, v1
	s_waitcnt lgkmcnt(0)
	s_barrier
	s_and_saveexec_b64 s[0:1], vcc
	s_cbranch_execz .LBB32_1
; %bb.3:                                ;   in Loop: Header=BB32_2 Depth=1
	ds_read_u8 v1, v3
	s_branch .LBB32_1
.LBB32_4:
	v_mov_b32_e32 v0, s3
	v_add_co_u32_e32 v2, vcc, s2, v2
	v_addc_co_u32_e32 v3, vcc, 0, v0, vcc
	global_store_byte v[2:3], v1, off
	s_endpgm
	.section	.rodata,"a",@progbits
	.p2align	6, 0x0
	.amdhsa_kernel _Z6kernelI2upaLj256ELj1ELj100EEvPKT0_PS1_
		.amdhsa_group_segment_fixed_size 256
		.amdhsa_private_segment_fixed_size 0
		.amdhsa_kernarg_size 16
		.amdhsa_user_sgpr_count 6
		.amdhsa_user_sgpr_private_segment_buffer 1
		.amdhsa_user_sgpr_dispatch_ptr 0
		.amdhsa_user_sgpr_queue_ptr 0
		.amdhsa_user_sgpr_kernarg_segment_ptr 1
		.amdhsa_user_sgpr_dispatch_id 0
		.amdhsa_user_sgpr_flat_scratch_init 0
		.amdhsa_user_sgpr_private_segment_size 0
		.amdhsa_uses_dynamic_stack 0
		.amdhsa_system_sgpr_private_segment_wavefront_offset 0
		.amdhsa_system_sgpr_workgroup_id_x 1
		.amdhsa_system_sgpr_workgroup_id_y 0
		.amdhsa_system_sgpr_workgroup_id_z 0
		.amdhsa_system_sgpr_workgroup_info 0
		.amdhsa_system_vgpr_workitem_id 0
		.amdhsa_next_free_vgpr 4
		.amdhsa_next_free_sgpr 7
		.amdhsa_reserve_vcc 1
		.amdhsa_reserve_flat_scratch 0
		.amdhsa_float_round_mode_32 0
		.amdhsa_float_round_mode_16_64 0
		.amdhsa_float_denorm_mode_32 3
		.amdhsa_float_denorm_mode_16_64 3
		.amdhsa_dx10_clamp 1
		.amdhsa_ieee_mode 1
		.amdhsa_fp16_overflow 0
		.amdhsa_exception_fp_ieee_invalid_op 0
		.amdhsa_exception_fp_denorm_src 0
		.amdhsa_exception_fp_ieee_div_zero 0
		.amdhsa_exception_fp_ieee_overflow 0
		.amdhsa_exception_fp_ieee_underflow 0
		.amdhsa_exception_fp_ieee_inexact 0
		.amdhsa_exception_int_div_zero 0
	.end_amdhsa_kernel
	.section	.text._Z6kernelI2upaLj256ELj1ELj100EEvPKT0_PS1_,"axG",@progbits,_Z6kernelI2upaLj256ELj1ELj100EEvPKT0_PS1_,comdat
.Lfunc_end32:
	.size	_Z6kernelI2upaLj256ELj1ELj100EEvPKT0_PS1_, .Lfunc_end32-_Z6kernelI2upaLj256ELj1ELj100EEvPKT0_PS1_
                                        ; -- End function
	.set _Z6kernelI2upaLj256ELj1ELj100EEvPKT0_PS1_.num_vgpr, 4
	.set _Z6kernelI2upaLj256ELj1ELj100EEvPKT0_PS1_.num_agpr, 0
	.set _Z6kernelI2upaLj256ELj1ELj100EEvPKT0_PS1_.numbered_sgpr, 7
	.set _Z6kernelI2upaLj256ELj1ELj100EEvPKT0_PS1_.num_named_barrier, 0
	.set _Z6kernelI2upaLj256ELj1ELj100EEvPKT0_PS1_.private_seg_size, 0
	.set _Z6kernelI2upaLj256ELj1ELj100EEvPKT0_PS1_.uses_vcc, 1
	.set _Z6kernelI2upaLj256ELj1ELj100EEvPKT0_PS1_.uses_flat_scratch, 0
	.set _Z6kernelI2upaLj256ELj1ELj100EEvPKT0_PS1_.has_dyn_sized_stack, 0
	.set _Z6kernelI2upaLj256ELj1ELj100EEvPKT0_PS1_.has_recursion, 0
	.set _Z6kernelI2upaLj256ELj1ELj100EEvPKT0_PS1_.has_indirect_call, 0
	.section	.AMDGPU.csdata,"",@progbits
; Kernel info:
; codeLenInByte = 132
; TotalNumSgprs: 11
; NumVgprs: 4
; ScratchSize: 0
; MemoryBound: 0
; FloatMode: 240
; IeeeMode: 1
; LDSByteSize: 256 bytes/workgroup (compile time only)
; SGPRBlocks: 1
; VGPRBlocks: 0
; NumSGPRsForWavesPerEU: 11
; NumVGPRsForWavesPerEU: 4
; Occupancy: 10
; WaveLimiterHint : 0
; COMPUTE_PGM_RSRC2:SCRATCH_EN: 0
; COMPUTE_PGM_RSRC2:USER_SGPR: 6
; COMPUTE_PGM_RSRC2:TRAP_HANDLER: 0
; COMPUTE_PGM_RSRC2:TGID_X_EN: 1
; COMPUTE_PGM_RSRC2:TGID_Y_EN: 0
; COMPUTE_PGM_RSRC2:TGID_Z_EN: 0
; COMPUTE_PGM_RSRC2:TIDIG_COMP_CNT: 0
	.section	.text._Z6kernelI2upaLj256ELj3ELj100EEvPKT0_PS1_,"axG",@progbits,_Z6kernelI2upaLj256ELj3ELj100EEvPKT0_PS1_,comdat
	.protected	_Z6kernelI2upaLj256ELj3ELj100EEvPKT0_PS1_ ; -- Begin function _Z6kernelI2upaLj256ELj3ELj100EEvPKT0_PS1_
	.globl	_Z6kernelI2upaLj256ELj3ELj100EEvPKT0_PS1_
	.p2align	8
	.type	_Z6kernelI2upaLj256ELj3ELj100EEvPKT0_PS1_,@function
_Z6kernelI2upaLj256ELj3ELj100EEvPKT0_PS1_: ; @_Z6kernelI2upaLj256ELj3ELj100EEvPKT0_PS1_
; %bb.0:
	s_load_dwordx4 s[0:3], s[4:5], 0x0
	v_lshl_or_b32 v1, s6, 8, v0
	v_lshl_add_u32 v3, v1, 1, v1
	v_add_u32_e32 v2, 1, v3
	v_add_u32_e32 v1, 2, v3
	s_waitcnt lgkmcnt(0)
	global_load_ubyte v4, v2, s[0:1]
	global_load_ubyte v6, v3, s[0:1]
	;; [unrolled: 1-line block ×3, first 2 shown]
	s_mov_b32 s0, 0xc0c0004
	s_movk_i32 s4, 0x64
	s_mov_b32 s5, 0xc0c0104
	v_cmp_ne_u32_e32 vcc, 0, v0
	v_add_u32_e32 v5, -1, v0
	s_mov_b32 s6, 0x3020104
	s_waitcnt vmcnt(1)
	v_perm_b32 v4, v6, v4, s0
	s_waitcnt vmcnt(0)
	v_lshl_or_b32 v4, v7, 16, v4
	s_branch .LBB33_2
.LBB33_1:                               ;   in Loop: Header=BB33_2 Depth=1
	s_or_b64 exec, exec, s[0:1]
	s_add_i32 s4, s4, -1
	s_cmp_lg_u32 s4, 0
	s_barrier
	s_cbranch_scc0 .LBB33_4
.LBB33_2:                               ; =>This Inner Loop Header: Depth=1
	v_lshrrev_b16_e32 v6, 8, v4
	v_lshlrev_b16_e32 v7, 8, v4
	ds_write_b8_d16_hi v0, v4
	v_perm_b32 v4, v4, v7, s5
	v_lshlrev_b32_e32 v6, 16, v6
	v_or_b32_e32 v4, v4, v6
	s_waitcnt lgkmcnt(0)
	s_barrier
	s_and_saveexec_b64 s[0:1], vcc
	s_cbranch_execz .LBB33_1
; %bb.3:                                ;   in Loop: Header=BB33_2 Depth=1
	ds_read_u8 v6, v5
	s_waitcnt lgkmcnt(0)
	v_perm_b32 v4, v6, v4, s6
	s_branch .LBB33_1
.LBB33_4:
	v_mov_b32_e32 v0, s3
	v_add_co_u32_e32 v5, vcc, s2, v3
	v_addc_co_u32_e32 v6, vcc, 0, v0, vcc
	v_mov_b32_e32 v3, s3
	v_add_co_u32_e32 v2, vcc, s2, v2
	v_lshrrev_b32_e32 v0, 8, v4
	v_addc_co_u32_e32 v3, vcc, 0, v3, vcc
	global_store_byte v[2:3], v0, off
	v_mov_b32_e32 v2, s3
	v_add_co_u32_e32 v0, vcc, s2, v1
	v_addc_co_u32_e32 v1, vcc, 0, v2, vcc
	global_store_byte v[5:6], v4, off
	global_store_byte_d16_hi v[0:1], v4, off
	s_endpgm
	.section	.rodata,"a",@progbits
	.p2align	6, 0x0
	.amdhsa_kernel _Z6kernelI2upaLj256ELj3ELj100EEvPKT0_PS1_
		.amdhsa_group_segment_fixed_size 256
		.amdhsa_private_segment_fixed_size 0
		.amdhsa_kernarg_size 16
		.amdhsa_user_sgpr_count 6
		.amdhsa_user_sgpr_private_segment_buffer 1
		.amdhsa_user_sgpr_dispatch_ptr 0
		.amdhsa_user_sgpr_queue_ptr 0
		.amdhsa_user_sgpr_kernarg_segment_ptr 1
		.amdhsa_user_sgpr_dispatch_id 0
		.amdhsa_user_sgpr_flat_scratch_init 0
		.amdhsa_user_sgpr_private_segment_size 0
		.amdhsa_uses_dynamic_stack 0
		.amdhsa_system_sgpr_private_segment_wavefront_offset 0
		.amdhsa_system_sgpr_workgroup_id_x 1
		.amdhsa_system_sgpr_workgroup_id_y 0
		.amdhsa_system_sgpr_workgroup_id_z 0
		.amdhsa_system_sgpr_workgroup_info 0
		.amdhsa_system_vgpr_workitem_id 0
		.amdhsa_next_free_vgpr 8
		.amdhsa_next_free_sgpr 7
		.amdhsa_reserve_vcc 1
		.amdhsa_reserve_flat_scratch 0
		.amdhsa_float_round_mode_32 0
		.amdhsa_float_round_mode_16_64 0
		.amdhsa_float_denorm_mode_32 3
		.amdhsa_float_denorm_mode_16_64 3
		.amdhsa_dx10_clamp 1
		.amdhsa_ieee_mode 1
		.amdhsa_fp16_overflow 0
		.amdhsa_exception_fp_ieee_invalid_op 0
		.amdhsa_exception_fp_denorm_src 0
		.amdhsa_exception_fp_ieee_div_zero 0
		.amdhsa_exception_fp_ieee_overflow 0
		.amdhsa_exception_fp_ieee_underflow 0
		.amdhsa_exception_fp_ieee_inexact 0
		.amdhsa_exception_int_div_zero 0
	.end_amdhsa_kernel
	.section	.text._Z6kernelI2upaLj256ELj3ELj100EEvPKT0_PS1_,"axG",@progbits,_Z6kernelI2upaLj256ELj3ELj100EEvPKT0_PS1_,comdat
.Lfunc_end33:
	.size	_Z6kernelI2upaLj256ELj3ELj100EEvPKT0_PS1_, .Lfunc_end33-_Z6kernelI2upaLj256ELj3ELj100EEvPKT0_PS1_
                                        ; -- End function
	.set _Z6kernelI2upaLj256ELj3ELj100EEvPKT0_PS1_.num_vgpr, 8
	.set _Z6kernelI2upaLj256ELj3ELj100EEvPKT0_PS1_.num_agpr, 0
	.set _Z6kernelI2upaLj256ELj3ELj100EEvPKT0_PS1_.numbered_sgpr, 7
	.set _Z6kernelI2upaLj256ELj3ELj100EEvPKT0_PS1_.num_named_barrier, 0
	.set _Z6kernelI2upaLj256ELj3ELj100EEvPKT0_PS1_.private_seg_size, 0
	.set _Z6kernelI2upaLj256ELj3ELj100EEvPKT0_PS1_.uses_vcc, 1
	.set _Z6kernelI2upaLj256ELj3ELj100EEvPKT0_PS1_.uses_flat_scratch, 0
	.set _Z6kernelI2upaLj256ELj3ELj100EEvPKT0_PS1_.has_dyn_sized_stack, 0
	.set _Z6kernelI2upaLj256ELj3ELj100EEvPKT0_PS1_.has_recursion, 0
	.set _Z6kernelI2upaLj256ELj3ELj100EEvPKT0_PS1_.has_indirect_call, 0
	.section	.AMDGPU.csdata,"",@progbits
; Kernel info:
; codeLenInByte = 284
; TotalNumSgprs: 11
; NumVgprs: 8
; ScratchSize: 0
; MemoryBound: 0
; FloatMode: 240
; IeeeMode: 1
; LDSByteSize: 256 bytes/workgroup (compile time only)
; SGPRBlocks: 1
; VGPRBlocks: 1
; NumSGPRsForWavesPerEU: 11
; NumVGPRsForWavesPerEU: 8
; Occupancy: 10
; WaveLimiterHint : 0
; COMPUTE_PGM_RSRC2:SCRATCH_EN: 0
; COMPUTE_PGM_RSRC2:USER_SGPR: 6
; COMPUTE_PGM_RSRC2:TRAP_HANDLER: 0
; COMPUTE_PGM_RSRC2:TGID_X_EN: 1
; COMPUTE_PGM_RSRC2:TGID_Y_EN: 0
; COMPUTE_PGM_RSRC2:TGID_Z_EN: 0
; COMPUTE_PGM_RSRC2:TIDIG_COMP_CNT: 0
	.section	.text._Z6kernelI2upaLj256ELj4ELj100EEvPKT0_PS1_,"axG",@progbits,_Z6kernelI2upaLj256ELj4ELj100EEvPKT0_PS1_,comdat
	.protected	_Z6kernelI2upaLj256ELj4ELj100EEvPKT0_PS1_ ; -- Begin function _Z6kernelI2upaLj256ELj4ELj100EEvPKT0_PS1_
	.globl	_Z6kernelI2upaLj256ELj4ELj100EEvPKT0_PS1_
	.p2align	8
	.type	_Z6kernelI2upaLj256ELj4ELj100EEvPKT0_PS1_,@function
_Z6kernelI2upaLj256ELj4ELj100EEvPKT0_PS1_: ; @_Z6kernelI2upaLj256ELj4ELj100EEvPKT0_PS1_
; %bb.0:
	s_load_dwordx4 s[0:3], s[4:5], 0x0
	v_lshlrev_b32_e32 v1, 2, v0
	v_lshl_or_b32 v2, s6, 10, v1
	v_cmp_ne_u32_e32 vcc, 0, v0
	v_add_u32_e32 v3, -1, v0
	s_waitcnt lgkmcnt(0)
	global_load_dword v1, v2, s[0:1]
	s_movk_i32 s4, 0x64
	s_mov_b32 s5, 0x6050404
	s_mov_b32 s6, 0x3020104
	s_branch .LBB34_2
.LBB34_1:                               ;   in Loop: Header=BB34_2 Depth=1
	s_or_b64 exec, exec, s[0:1]
	s_add_i32 s4, s4, -1
	s_cmp_lg_u32 s4, 0
	s_barrier
	s_cbranch_scc0 .LBB34_4
.LBB34_2:                               ; =>This Inner Loop Header: Depth=1
	s_waitcnt vmcnt(0)
	v_lshrrev_b32_e32 v4, 24, v1
	v_perm_b32 v1, v1, v1, s5
	ds_write_b8 v0, v4
	s_waitcnt lgkmcnt(0)
	s_barrier
	s_and_saveexec_b64 s[0:1], vcc
	s_cbranch_execz .LBB34_1
; %bb.3:                                ;   in Loop: Header=BB34_2 Depth=1
	ds_read_u8 v4, v3
	s_waitcnt lgkmcnt(0)
	v_perm_b32 v1, v4, v1, s6
	s_branch .LBB34_1
.LBB34_4:
	v_mov_b32_e32 v0, s3
	v_add_co_u32_e32 v2, vcc, s2, v2
	v_addc_co_u32_e32 v3, vcc, 0, v0, vcc
	global_store_dword v[2:3], v1, off
	s_endpgm
	.section	.rodata,"a",@progbits
	.p2align	6, 0x0
	.amdhsa_kernel _Z6kernelI2upaLj256ELj4ELj100EEvPKT0_PS1_
		.amdhsa_group_segment_fixed_size 256
		.amdhsa_private_segment_fixed_size 0
		.amdhsa_kernarg_size 16
		.amdhsa_user_sgpr_count 6
		.amdhsa_user_sgpr_private_segment_buffer 1
		.amdhsa_user_sgpr_dispatch_ptr 0
		.amdhsa_user_sgpr_queue_ptr 0
		.amdhsa_user_sgpr_kernarg_segment_ptr 1
		.amdhsa_user_sgpr_dispatch_id 0
		.amdhsa_user_sgpr_flat_scratch_init 0
		.amdhsa_user_sgpr_private_segment_size 0
		.amdhsa_uses_dynamic_stack 0
		.amdhsa_system_sgpr_private_segment_wavefront_offset 0
		.amdhsa_system_sgpr_workgroup_id_x 1
		.amdhsa_system_sgpr_workgroup_id_y 0
		.amdhsa_system_sgpr_workgroup_id_z 0
		.amdhsa_system_sgpr_workgroup_info 0
		.amdhsa_system_vgpr_workitem_id 0
		.amdhsa_next_free_vgpr 5
		.amdhsa_next_free_sgpr 7
		.amdhsa_reserve_vcc 1
		.amdhsa_reserve_flat_scratch 0
		.amdhsa_float_round_mode_32 0
		.amdhsa_float_round_mode_16_64 0
		.amdhsa_float_denorm_mode_32 3
		.amdhsa_float_denorm_mode_16_64 3
		.amdhsa_dx10_clamp 1
		.amdhsa_ieee_mode 1
		.amdhsa_fp16_overflow 0
		.amdhsa_exception_fp_ieee_invalid_op 0
		.amdhsa_exception_fp_denorm_src 0
		.amdhsa_exception_fp_ieee_div_zero 0
		.amdhsa_exception_fp_ieee_overflow 0
		.amdhsa_exception_fp_ieee_underflow 0
		.amdhsa_exception_fp_ieee_inexact 0
		.amdhsa_exception_int_div_zero 0
	.end_amdhsa_kernel
	.section	.text._Z6kernelI2upaLj256ELj4ELj100EEvPKT0_PS1_,"axG",@progbits,_Z6kernelI2upaLj256ELj4ELj100EEvPKT0_PS1_,comdat
.Lfunc_end34:
	.size	_Z6kernelI2upaLj256ELj4ELj100EEvPKT0_PS1_, .Lfunc_end34-_Z6kernelI2upaLj256ELj4ELj100EEvPKT0_PS1_
                                        ; -- End function
	.set _Z6kernelI2upaLj256ELj4ELj100EEvPKT0_PS1_.num_vgpr, 5
	.set _Z6kernelI2upaLj256ELj4ELj100EEvPKT0_PS1_.num_agpr, 0
	.set _Z6kernelI2upaLj256ELj4ELj100EEvPKT0_PS1_.numbered_sgpr, 7
	.set _Z6kernelI2upaLj256ELj4ELj100EEvPKT0_PS1_.num_named_barrier, 0
	.set _Z6kernelI2upaLj256ELj4ELj100EEvPKT0_PS1_.private_seg_size, 0
	.set _Z6kernelI2upaLj256ELj4ELj100EEvPKT0_PS1_.uses_vcc, 1
	.set _Z6kernelI2upaLj256ELj4ELj100EEvPKT0_PS1_.uses_flat_scratch, 0
	.set _Z6kernelI2upaLj256ELj4ELj100EEvPKT0_PS1_.has_dyn_sized_stack, 0
	.set _Z6kernelI2upaLj256ELj4ELj100EEvPKT0_PS1_.has_recursion, 0
	.set _Z6kernelI2upaLj256ELj4ELj100EEvPKT0_PS1_.has_indirect_call, 0
	.section	.AMDGPU.csdata,"",@progbits
; Kernel info:
; codeLenInByte = 172
; TotalNumSgprs: 11
; NumVgprs: 5
; ScratchSize: 0
; MemoryBound: 0
; FloatMode: 240
; IeeeMode: 1
; LDSByteSize: 256 bytes/workgroup (compile time only)
; SGPRBlocks: 1
; VGPRBlocks: 1
; NumSGPRsForWavesPerEU: 11
; NumVGPRsForWavesPerEU: 5
; Occupancy: 10
; WaveLimiterHint : 0
; COMPUTE_PGM_RSRC2:SCRATCH_EN: 0
; COMPUTE_PGM_RSRC2:USER_SGPR: 6
; COMPUTE_PGM_RSRC2:TRAP_HANDLER: 0
; COMPUTE_PGM_RSRC2:TGID_X_EN: 1
; COMPUTE_PGM_RSRC2:TGID_Y_EN: 0
; COMPUTE_PGM_RSRC2:TGID_Z_EN: 0
; COMPUTE_PGM_RSRC2:TIDIG_COMP_CNT: 0
	.section	.text._Z6kernelI2upaLj256ELj8ELj100EEvPKT0_PS1_,"axG",@progbits,_Z6kernelI2upaLj256ELj8ELj100EEvPKT0_PS1_,comdat
	.protected	_Z6kernelI2upaLj256ELj8ELj100EEvPKT0_PS1_ ; -- Begin function _Z6kernelI2upaLj256ELj8ELj100EEvPKT0_PS1_
	.globl	_Z6kernelI2upaLj256ELj8ELj100EEvPKT0_PS1_
	.p2align	8
	.type	_Z6kernelI2upaLj256ELj8ELj100EEvPKT0_PS1_,@function
_Z6kernelI2upaLj256ELj8ELj100EEvPKT0_PS1_: ; @_Z6kernelI2upaLj256ELj8ELj100EEvPKT0_PS1_
; %bb.0:
	s_load_dwordx4 s[0:3], s[4:5], 0x0
	v_lshlrev_b32_e32 v1, 3, v0
	v_lshl_or_b32 v3, s6, 11, v1
	v_cmp_ne_u32_e32 vcc, 0, v0
	v_add_u32_e32 v4, -1, v0
	s_waitcnt lgkmcnt(0)
	global_load_dwordx2 v[1:2], v3, s[0:1]
	s_movk_i32 s4, 0x64
	s_mov_b32 s5, 0x2010007
	s_mov_b32 s6, 0x6050404
	;; [unrolled: 1-line block ×3, first 2 shown]
	s_branch .LBB35_2
.LBB35_1:                               ;   in Loop: Header=BB35_2 Depth=1
	s_or_b64 exec, exec, s[0:1]
	s_add_i32 s4, s4, -1
	s_cmp_lg_u32 s4, 0
	s_barrier
	s_cbranch_scc0 .LBB35_4
.LBB35_2:                               ; =>This Inner Loop Header: Depth=1
	s_waitcnt vmcnt(0)
	v_lshrrev_b32_e32 v5, 24, v2
	v_perm_b32 v2, v1, v2, s5
	v_perm_b32 v1, v1, v1, s6
	ds_write_b8 v0, v5
	s_waitcnt lgkmcnt(0)
	s_barrier
	s_and_saveexec_b64 s[0:1], vcc
	s_cbranch_execz .LBB35_1
; %bb.3:                                ;   in Loop: Header=BB35_2 Depth=1
	ds_read_u8 v5, v4
	s_waitcnt lgkmcnt(0)
	v_perm_b32 v1, v5, v1, s7
	s_branch .LBB35_1
.LBB35_4:
	v_mov_b32_e32 v0, s3
	v_add_co_u32_e32 v3, vcc, s2, v3
	v_addc_co_u32_e32 v4, vcc, 0, v0, vcc
	global_store_dwordx2 v[3:4], v[1:2], off
	s_endpgm
	.section	.rodata,"a",@progbits
	.p2align	6, 0x0
	.amdhsa_kernel _Z6kernelI2upaLj256ELj8ELj100EEvPKT0_PS1_
		.amdhsa_group_segment_fixed_size 256
		.amdhsa_private_segment_fixed_size 0
		.amdhsa_kernarg_size 16
		.amdhsa_user_sgpr_count 6
		.amdhsa_user_sgpr_private_segment_buffer 1
		.amdhsa_user_sgpr_dispatch_ptr 0
		.amdhsa_user_sgpr_queue_ptr 0
		.amdhsa_user_sgpr_kernarg_segment_ptr 1
		.amdhsa_user_sgpr_dispatch_id 0
		.amdhsa_user_sgpr_flat_scratch_init 0
		.amdhsa_user_sgpr_private_segment_size 0
		.amdhsa_uses_dynamic_stack 0
		.amdhsa_system_sgpr_private_segment_wavefront_offset 0
		.amdhsa_system_sgpr_workgroup_id_x 1
		.amdhsa_system_sgpr_workgroup_id_y 0
		.amdhsa_system_sgpr_workgroup_id_z 0
		.amdhsa_system_sgpr_workgroup_info 0
		.amdhsa_system_vgpr_workitem_id 0
		.amdhsa_next_free_vgpr 6
		.amdhsa_next_free_sgpr 8
		.amdhsa_reserve_vcc 1
		.amdhsa_reserve_flat_scratch 0
		.amdhsa_float_round_mode_32 0
		.amdhsa_float_round_mode_16_64 0
		.amdhsa_float_denorm_mode_32 3
		.amdhsa_float_denorm_mode_16_64 3
		.amdhsa_dx10_clamp 1
		.amdhsa_ieee_mode 1
		.amdhsa_fp16_overflow 0
		.amdhsa_exception_fp_ieee_invalid_op 0
		.amdhsa_exception_fp_denorm_src 0
		.amdhsa_exception_fp_ieee_div_zero 0
		.amdhsa_exception_fp_ieee_overflow 0
		.amdhsa_exception_fp_ieee_underflow 0
		.amdhsa_exception_fp_ieee_inexact 0
		.amdhsa_exception_int_div_zero 0
	.end_amdhsa_kernel
	.section	.text._Z6kernelI2upaLj256ELj8ELj100EEvPKT0_PS1_,"axG",@progbits,_Z6kernelI2upaLj256ELj8ELj100EEvPKT0_PS1_,comdat
.Lfunc_end35:
	.size	_Z6kernelI2upaLj256ELj8ELj100EEvPKT0_PS1_, .Lfunc_end35-_Z6kernelI2upaLj256ELj8ELj100EEvPKT0_PS1_
                                        ; -- End function
	.set _Z6kernelI2upaLj256ELj8ELj100EEvPKT0_PS1_.num_vgpr, 6
	.set _Z6kernelI2upaLj256ELj8ELj100EEvPKT0_PS1_.num_agpr, 0
	.set _Z6kernelI2upaLj256ELj8ELj100EEvPKT0_PS1_.numbered_sgpr, 8
	.set _Z6kernelI2upaLj256ELj8ELj100EEvPKT0_PS1_.num_named_barrier, 0
	.set _Z6kernelI2upaLj256ELj8ELj100EEvPKT0_PS1_.private_seg_size, 0
	.set _Z6kernelI2upaLj256ELj8ELj100EEvPKT0_PS1_.uses_vcc, 1
	.set _Z6kernelI2upaLj256ELj8ELj100EEvPKT0_PS1_.uses_flat_scratch, 0
	.set _Z6kernelI2upaLj256ELj8ELj100EEvPKT0_PS1_.has_dyn_sized_stack, 0
	.set _Z6kernelI2upaLj256ELj8ELj100EEvPKT0_PS1_.has_recursion, 0
	.set _Z6kernelI2upaLj256ELj8ELj100EEvPKT0_PS1_.has_indirect_call, 0
	.section	.AMDGPU.csdata,"",@progbits
; Kernel info:
; codeLenInByte = 188
; TotalNumSgprs: 12
; NumVgprs: 6
; ScratchSize: 0
; MemoryBound: 0
; FloatMode: 240
; IeeeMode: 1
; LDSByteSize: 256 bytes/workgroup (compile time only)
; SGPRBlocks: 1
; VGPRBlocks: 1
; NumSGPRsForWavesPerEU: 12
; NumVGPRsForWavesPerEU: 6
; Occupancy: 10
; WaveLimiterHint : 0
; COMPUTE_PGM_RSRC2:SCRATCH_EN: 0
; COMPUTE_PGM_RSRC2:USER_SGPR: 6
; COMPUTE_PGM_RSRC2:TRAP_HANDLER: 0
; COMPUTE_PGM_RSRC2:TGID_X_EN: 1
; COMPUTE_PGM_RSRC2:TGID_Y_EN: 0
; COMPUTE_PGM_RSRC2:TGID_Z_EN: 0
; COMPUTE_PGM_RSRC2:TIDIG_COMP_CNT: 0
	.section	.text._Z6kernelI2upaLj256ELj16ELj100EEvPKT0_PS1_,"axG",@progbits,_Z6kernelI2upaLj256ELj16ELj100EEvPKT0_PS1_,comdat
	.protected	_Z6kernelI2upaLj256ELj16ELj100EEvPKT0_PS1_ ; -- Begin function _Z6kernelI2upaLj256ELj16ELj100EEvPKT0_PS1_
	.globl	_Z6kernelI2upaLj256ELj16ELj100EEvPKT0_PS1_
	.p2align	8
	.type	_Z6kernelI2upaLj256ELj16ELj100EEvPKT0_PS1_,@function
_Z6kernelI2upaLj256ELj16ELj100EEvPKT0_PS1_: ; @_Z6kernelI2upaLj256ELj16ELj100EEvPKT0_PS1_
; %bb.0:
	s_load_dwordx4 s[0:3], s[4:5], 0x0
	v_lshlrev_b32_e32 v1, 4, v0
	v_lshl_or_b32 v5, s6, 12, v1
	v_cmp_ne_u32_e32 vcc, 0, v0
	v_add_u32_e32 v6, -1, v0
	s_waitcnt lgkmcnt(0)
	global_load_dwordx4 v[1:4], v5, s[0:1]
	s_movk_i32 s4, 0x64
	s_mov_b32 s5, 0x2010007
	s_mov_b32 s6, 0x6050404
	;; [unrolled: 1-line block ×3, first 2 shown]
	s_branch .LBB36_2
.LBB36_1:                               ;   in Loop: Header=BB36_2 Depth=1
	s_or_b64 exec, exec, s[0:1]
	s_add_i32 s4, s4, -1
	s_cmp_lg_u32 s4, 0
	s_barrier
	s_cbranch_scc0 .LBB36_4
.LBB36_2:                               ; =>This Inner Loop Header: Depth=1
	s_waitcnt vmcnt(0)
	v_lshrrev_b32_e32 v7, 24, v4
	v_perm_b32 v4, v3, v4, s5
	v_perm_b32 v3, v2, v3, s5
	;; [unrolled: 1-line block ×4, first 2 shown]
	ds_write_b8 v0, v7
	s_waitcnt lgkmcnt(0)
	s_barrier
	s_and_saveexec_b64 s[0:1], vcc
	s_cbranch_execz .LBB36_1
; %bb.3:                                ;   in Loop: Header=BB36_2 Depth=1
	ds_read_u8 v7, v6
	s_waitcnt lgkmcnt(0)
	v_perm_b32 v1, v7, v1, s7
	s_branch .LBB36_1
.LBB36_4:
	v_mov_b32_e32 v0, s3
	v_add_co_u32_e32 v5, vcc, s2, v5
	v_addc_co_u32_e32 v6, vcc, 0, v0, vcc
	global_store_dwordx4 v[5:6], v[1:4], off
	s_endpgm
	.section	.rodata,"a",@progbits
	.p2align	6, 0x0
	.amdhsa_kernel _Z6kernelI2upaLj256ELj16ELj100EEvPKT0_PS1_
		.amdhsa_group_segment_fixed_size 256
		.amdhsa_private_segment_fixed_size 0
		.amdhsa_kernarg_size 16
		.amdhsa_user_sgpr_count 6
		.amdhsa_user_sgpr_private_segment_buffer 1
		.amdhsa_user_sgpr_dispatch_ptr 0
		.amdhsa_user_sgpr_queue_ptr 0
		.amdhsa_user_sgpr_kernarg_segment_ptr 1
		.amdhsa_user_sgpr_dispatch_id 0
		.amdhsa_user_sgpr_flat_scratch_init 0
		.amdhsa_user_sgpr_private_segment_size 0
		.amdhsa_uses_dynamic_stack 0
		.amdhsa_system_sgpr_private_segment_wavefront_offset 0
		.amdhsa_system_sgpr_workgroup_id_x 1
		.amdhsa_system_sgpr_workgroup_id_y 0
		.amdhsa_system_sgpr_workgroup_id_z 0
		.amdhsa_system_sgpr_workgroup_info 0
		.amdhsa_system_vgpr_workitem_id 0
		.amdhsa_next_free_vgpr 8
		.amdhsa_next_free_sgpr 8
		.amdhsa_reserve_vcc 1
		.amdhsa_reserve_flat_scratch 0
		.amdhsa_float_round_mode_32 0
		.amdhsa_float_round_mode_16_64 0
		.amdhsa_float_denorm_mode_32 3
		.amdhsa_float_denorm_mode_16_64 3
		.amdhsa_dx10_clamp 1
		.amdhsa_ieee_mode 1
		.amdhsa_fp16_overflow 0
		.amdhsa_exception_fp_ieee_invalid_op 0
		.amdhsa_exception_fp_denorm_src 0
		.amdhsa_exception_fp_ieee_div_zero 0
		.amdhsa_exception_fp_ieee_overflow 0
		.amdhsa_exception_fp_ieee_underflow 0
		.amdhsa_exception_fp_ieee_inexact 0
		.amdhsa_exception_int_div_zero 0
	.end_amdhsa_kernel
	.section	.text._Z6kernelI2upaLj256ELj16ELj100EEvPKT0_PS1_,"axG",@progbits,_Z6kernelI2upaLj256ELj16ELj100EEvPKT0_PS1_,comdat
.Lfunc_end36:
	.size	_Z6kernelI2upaLj256ELj16ELj100EEvPKT0_PS1_, .Lfunc_end36-_Z6kernelI2upaLj256ELj16ELj100EEvPKT0_PS1_
                                        ; -- End function
	.set _Z6kernelI2upaLj256ELj16ELj100EEvPKT0_PS1_.num_vgpr, 8
	.set _Z6kernelI2upaLj256ELj16ELj100EEvPKT0_PS1_.num_agpr, 0
	.set _Z6kernelI2upaLj256ELj16ELj100EEvPKT0_PS1_.numbered_sgpr, 8
	.set _Z6kernelI2upaLj256ELj16ELj100EEvPKT0_PS1_.num_named_barrier, 0
	.set _Z6kernelI2upaLj256ELj16ELj100EEvPKT0_PS1_.private_seg_size, 0
	.set _Z6kernelI2upaLj256ELj16ELj100EEvPKT0_PS1_.uses_vcc, 1
	.set _Z6kernelI2upaLj256ELj16ELj100EEvPKT0_PS1_.uses_flat_scratch, 0
	.set _Z6kernelI2upaLj256ELj16ELj100EEvPKT0_PS1_.has_dyn_sized_stack, 0
	.set _Z6kernelI2upaLj256ELj16ELj100EEvPKT0_PS1_.has_recursion, 0
	.set _Z6kernelI2upaLj256ELj16ELj100EEvPKT0_PS1_.has_indirect_call, 0
	.section	.AMDGPU.csdata,"",@progbits
; Kernel info:
; codeLenInByte = 204
; TotalNumSgprs: 12
; NumVgprs: 8
; ScratchSize: 0
; MemoryBound: 0
; FloatMode: 240
; IeeeMode: 1
; LDSByteSize: 256 bytes/workgroup (compile time only)
; SGPRBlocks: 1
; VGPRBlocks: 1
; NumSGPRsForWavesPerEU: 12
; NumVGPRsForWavesPerEU: 8
; Occupancy: 10
; WaveLimiterHint : 0
; COMPUTE_PGM_RSRC2:SCRATCH_EN: 0
; COMPUTE_PGM_RSRC2:USER_SGPR: 6
; COMPUTE_PGM_RSRC2:TRAP_HANDLER: 0
; COMPUTE_PGM_RSRC2:TGID_X_EN: 1
; COMPUTE_PGM_RSRC2:TGID_Y_EN: 0
; COMPUTE_PGM_RSRC2:TGID_Z_EN: 0
; COMPUTE_PGM_RSRC2:TIDIG_COMP_CNT: 0
	.section	.text._Z6kernelI2upaLj256ELj32ELj100EEvPKT0_PS1_,"axG",@progbits,_Z6kernelI2upaLj256ELj32ELj100EEvPKT0_PS1_,comdat
	.protected	_Z6kernelI2upaLj256ELj32ELj100EEvPKT0_PS1_ ; -- Begin function _Z6kernelI2upaLj256ELj32ELj100EEvPKT0_PS1_
	.globl	_Z6kernelI2upaLj256ELj32ELj100EEvPKT0_PS1_
	.p2align	8
	.type	_Z6kernelI2upaLj256ELj32ELj100EEvPKT0_PS1_,@function
_Z6kernelI2upaLj256ELj32ELj100EEvPKT0_PS1_: ; @_Z6kernelI2upaLj256ELj32ELj100EEvPKT0_PS1_
; %bb.0:
	s_load_dwordx4 s[0:3], s[4:5], 0x0
	v_lshlrev_b32_e32 v1, 5, v0
	v_lshl_or_b32 v9, s6, 13, v1
	v_cmp_ne_u32_e32 vcc, 0, v0
	v_add_u32_e32 v10, -1, v0
	s_waitcnt lgkmcnt(0)
	global_load_dwordx4 v[5:8], v9, s[0:1]
	global_load_dwordx4 v[1:4], v9, s[0:1] offset:16
	s_movk_i32 s4, 0x64
	s_mov_b32 s5, 0x2010007
	s_mov_b32 s6, 0x6050404
	;; [unrolled: 1-line block ×3, first 2 shown]
	s_branch .LBB37_2
.LBB37_1:                               ;   in Loop: Header=BB37_2 Depth=1
	s_or_b64 exec, exec, s[0:1]
	s_add_i32 s4, s4, -1
	s_cmp_lg_u32 s4, 0
	s_barrier
	s_cbranch_scc0 .LBB37_4
.LBB37_2:                               ; =>This Inner Loop Header: Depth=1
	s_waitcnt vmcnt(0)
	v_lshrrev_b32_e32 v11, 24, v4
	v_perm_b32 v4, v3, v4, s5
	v_perm_b32 v3, v2, v3, s5
	;; [unrolled: 1-line block ×8, first 2 shown]
	ds_write_b8 v0, v11
	s_waitcnt lgkmcnt(0)
	s_barrier
	s_and_saveexec_b64 s[0:1], vcc
	s_cbranch_execz .LBB37_1
; %bb.3:                                ;   in Loop: Header=BB37_2 Depth=1
	ds_read_u8 v11, v10
	s_waitcnt lgkmcnt(0)
	v_perm_b32 v5, v11, v5, s7
	s_branch .LBB37_1
.LBB37_4:
	v_mov_b32_e32 v0, s3
	v_add_co_u32_e32 v9, vcc, s2, v9
	v_addc_co_u32_e32 v10, vcc, 0, v0, vcc
	global_store_dwordx4 v[9:10], v[5:8], off
	global_store_dwordx4 v[9:10], v[1:4], off offset:16
	s_endpgm
	.section	.rodata,"a",@progbits
	.p2align	6, 0x0
	.amdhsa_kernel _Z6kernelI2upaLj256ELj32ELj100EEvPKT0_PS1_
		.amdhsa_group_segment_fixed_size 256
		.amdhsa_private_segment_fixed_size 0
		.amdhsa_kernarg_size 16
		.amdhsa_user_sgpr_count 6
		.amdhsa_user_sgpr_private_segment_buffer 1
		.amdhsa_user_sgpr_dispatch_ptr 0
		.amdhsa_user_sgpr_queue_ptr 0
		.amdhsa_user_sgpr_kernarg_segment_ptr 1
		.amdhsa_user_sgpr_dispatch_id 0
		.amdhsa_user_sgpr_flat_scratch_init 0
		.amdhsa_user_sgpr_private_segment_size 0
		.amdhsa_uses_dynamic_stack 0
		.amdhsa_system_sgpr_private_segment_wavefront_offset 0
		.amdhsa_system_sgpr_workgroup_id_x 1
		.amdhsa_system_sgpr_workgroup_id_y 0
		.amdhsa_system_sgpr_workgroup_id_z 0
		.amdhsa_system_sgpr_workgroup_info 0
		.amdhsa_system_vgpr_workitem_id 0
		.amdhsa_next_free_vgpr 12
		.amdhsa_next_free_sgpr 8
		.amdhsa_reserve_vcc 1
		.amdhsa_reserve_flat_scratch 0
		.amdhsa_float_round_mode_32 0
		.amdhsa_float_round_mode_16_64 0
		.amdhsa_float_denorm_mode_32 3
		.amdhsa_float_denorm_mode_16_64 3
		.amdhsa_dx10_clamp 1
		.amdhsa_ieee_mode 1
		.amdhsa_fp16_overflow 0
		.amdhsa_exception_fp_ieee_invalid_op 0
		.amdhsa_exception_fp_denorm_src 0
		.amdhsa_exception_fp_ieee_div_zero 0
		.amdhsa_exception_fp_ieee_overflow 0
		.amdhsa_exception_fp_ieee_underflow 0
		.amdhsa_exception_fp_ieee_inexact 0
		.amdhsa_exception_int_div_zero 0
	.end_amdhsa_kernel
	.section	.text._Z6kernelI2upaLj256ELj32ELj100EEvPKT0_PS1_,"axG",@progbits,_Z6kernelI2upaLj256ELj32ELj100EEvPKT0_PS1_,comdat
.Lfunc_end37:
	.size	_Z6kernelI2upaLj256ELj32ELj100EEvPKT0_PS1_, .Lfunc_end37-_Z6kernelI2upaLj256ELj32ELj100EEvPKT0_PS1_
                                        ; -- End function
	.set _Z6kernelI2upaLj256ELj32ELj100EEvPKT0_PS1_.num_vgpr, 12
	.set _Z6kernelI2upaLj256ELj32ELj100EEvPKT0_PS1_.num_agpr, 0
	.set _Z6kernelI2upaLj256ELj32ELj100EEvPKT0_PS1_.numbered_sgpr, 8
	.set _Z6kernelI2upaLj256ELj32ELj100EEvPKT0_PS1_.num_named_barrier, 0
	.set _Z6kernelI2upaLj256ELj32ELj100EEvPKT0_PS1_.private_seg_size, 0
	.set _Z6kernelI2upaLj256ELj32ELj100EEvPKT0_PS1_.uses_vcc, 1
	.set _Z6kernelI2upaLj256ELj32ELj100EEvPKT0_PS1_.uses_flat_scratch, 0
	.set _Z6kernelI2upaLj256ELj32ELj100EEvPKT0_PS1_.has_dyn_sized_stack, 0
	.set _Z6kernelI2upaLj256ELj32ELj100EEvPKT0_PS1_.has_recursion, 0
	.set _Z6kernelI2upaLj256ELj32ELj100EEvPKT0_PS1_.has_indirect_call, 0
	.section	.AMDGPU.csdata,"",@progbits
; Kernel info:
; codeLenInByte = 252
; TotalNumSgprs: 12
; NumVgprs: 12
; ScratchSize: 0
; MemoryBound: 0
; FloatMode: 240
; IeeeMode: 1
; LDSByteSize: 256 bytes/workgroup (compile time only)
; SGPRBlocks: 1
; VGPRBlocks: 2
; NumSGPRsForWavesPerEU: 12
; NumVGPRsForWavesPerEU: 12
; Occupancy: 10
; WaveLimiterHint : 0
; COMPUTE_PGM_RSRC2:SCRATCH_EN: 0
; COMPUTE_PGM_RSRC2:USER_SGPR: 6
; COMPUTE_PGM_RSRC2:TRAP_HANDLER: 0
; COMPUTE_PGM_RSRC2:TGID_X_EN: 1
; COMPUTE_PGM_RSRC2:TGID_Y_EN: 0
; COMPUTE_PGM_RSRC2:TGID_Z_EN: 0
; COMPUTE_PGM_RSRC2:TIDIG_COMP_CNT: 0
	.section	.text._Z6kernelI2upxLj256ELj1ELj100EEvPKT0_PS1_,"axG",@progbits,_Z6kernelI2upxLj256ELj1ELj100EEvPKT0_PS1_,comdat
	.protected	_Z6kernelI2upxLj256ELj1ELj100EEvPKT0_PS1_ ; -- Begin function _Z6kernelI2upxLj256ELj1ELj100EEvPKT0_PS1_
	.globl	_Z6kernelI2upxLj256ELj1ELj100EEvPKT0_PS1_
	.p2align	8
	.type	_Z6kernelI2upxLj256ELj1ELj100EEvPKT0_PS1_,@function
_Z6kernelI2upxLj256ELj1ELj100EEvPKT0_PS1_: ; @_Z6kernelI2upxLj256ELj1ELj100EEvPKT0_PS1_
; %bb.0:
	s_load_dwordx4 s[0:3], s[4:5], 0x0
	v_lshl_or_b32 v1, s6, 8, v0
	v_mov_b32_e32 v2, 0
	v_lshlrev_b64 v[1:2], 3, v[1:2]
	v_lshlrev_b32_e32 v5, 3, v0
	s_waitcnt lgkmcnt(0)
	v_mov_b32_e32 v4, s1
	v_add_co_u32_e32 v3, vcc, s0, v1
	v_addc_co_u32_e32 v4, vcc, v4, v2, vcc
	global_load_dwordx2 v[3:4], v[3:4], off
	v_cmp_ne_u32_e32 vcc, 0, v0
	v_add_u32_e32 v0, -8, v5
	s_movk_i32 s4, 0x64
	s_branch .LBB38_2
.LBB38_1:                               ;   in Loop: Header=BB38_2 Depth=1
	s_or_b64 exec, exec, s[0:1]
	s_add_i32 s4, s4, -1
	s_cmp_lg_u32 s4, 0
	s_waitcnt lgkmcnt(0)
	s_barrier
	s_cbranch_scc0 .LBB38_4
.LBB38_2:                               ; =>This Inner Loop Header: Depth=1
	s_waitcnt vmcnt(0)
	ds_write_b64 v5, v[3:4]
	s_waitcnt lgkmcnt(0)
	s_barrier
	s_and_saveexec_b64 s[0:1], vcc
	s_cbranch_execz .LBB38_1
; %bb.3:                                ;   in Loop: Header=BB38_2 Depth=1
	ds_read_b64 v[3:4], v0
	s_branch .LBB38_1
.LBB38_4:
	v_mov_b32_e32 v5, s3
	v_add_co_u32_e32 v0, vcc, s2, v1
	v_addc_co_u32_e32 v1, vcc, v5, v2, vcc
	global_store_dwordx2 v[0:1], v[3:4], off
	s_endpgm
	.section	.rodata,"a",@progbits
	.p2align	6, 0x0
	.amdhsa_kernel _Z6kernelI2upxLj256ELj1ELj100EEvPKT0_PS1_
		.amdhsa_group_segment_fixed_size 2048
		.amdhsa_private_segment_fixed_size 0
		.amdhsa_kernarg_size 16
		.amdhsa_user_sgpr_count 6
		.amdhsa_user_sgpr_private_segment_buffer 1
		.amdhsa_user_sgpr_dispatch_ptr 0
		.amdhsa_user_sgpr_queue_ptr 0
		.amdhsa_user_sgpr_kernarg_segment_ptr 1
		.amdhsa_user_sgpr_dispatch_id 0
		.amdhsa_user_sgpr_flat_scratch_init 0
		.amdhsa_user_sgpr_private_segment_size 0
		.amdhsa_uses_dynamic_stack 0
		.amdhsa_system_sgpr_private_segment_wavefront_offset 0
		.amdhsa_system_sgpr_workgroup_id_x 1
		.amdhsa_system_sgpr_workgroup_id_y 0
		.amdhsa_system_sgpr_workgroup_id_z 0
		.amdhsa_system_sgpr_workgroup_info 0
		.amdhsa_system_vgpr_workitem_id 0
		.amdhsa_next_free_vgpr 6
		.amdhsa_next_free_sgpr 7
		.amdhsa_reserve_vcc 1
		.amdhsa_reserve_flat_scratch 0
		.amdhsa_float_round_mode_32 0
		.amdhsa_float_round_mode_16_64 0
		.amdhsa_float_denorm_mode_32 3
		.amdhsa_float_denorm_mode_16_64 3
		.amdhsa_dx10_clamp 1
		.amdhsa_ieee_mode 1
		.amdhsa_fp16_overflow 0
		.amdhsa_exception_fp_ieee_invalid_op 0
		.amdhsa_exception_fp_denorm_src 0
		.amdhsa_exception_fp_ieee_div_zero 0
		.amdhsa_exception_fp_ieee_overflow 0
		.amdhsa_exception_fp_ieee_underflow 0
		.amdhsa_exception_fp_ieee_inexact 0
		.amdhsa_exception_int_div_zero 0
	.end_amdhsa_kernel
	.section	.text._Z6kernelI2upxLj256ELj1ELj100EEvPKT0_PS1_,"axG",@progbits,_Z6kernelI2upxLj256ELj1ELj100EEvPKT0_PS1_,comdat
.Lfunc_end38:
	.size	_Z6kernelI2upxLj256ELj1ELj100EEvPKT0_PS1_, .Lfunc_end38-_Z6kernelI2upxLj256ELj1ELj100EEvPKT0_PS1_
                                        ; -- End function
	.set _Z6kernelI2upxLj256ELj1ELj100EEvPKT0_PS1_.num_vgpr, 6
	.set _Z6kernelI2upxLj256ELj1ELj100EEvPKT0_PS1_.num_agpr, 0
	.set _Z6kernelI2upxLj256ELj1ELj100EEvPKT0_PS1_.numbered_sgpr, 7
	.set _Z6kernelI2upxLj256ELj1ELj100EEvPKT0_PS1_.num_named_barrier, 0
	.set _Z6kernelI2upxLj256ELj1ELj100EEvPKT0_PS1_.private_seg_size, 0
	.set _Z6kernelI2upxLj256ELj1ELj100EEvPKT0_PS1_.uses_vcc, 1
	.set _Z6kernelI2upxLj256ELj1ELj100EEvPKT0_PS1_.uses_flat_scratch, 0
	.set _Z6kernelI2upxLj256ELj1ELj100EEvPKT0_PS1_.has_dyn_sized_stack, 0
	.set _Z6kernelI2upxLj256ELj1ELj100EEvPKT0_PS1_.has_recursion, 0
	.set _Z6kernelI2upxLj256ELj1ELj100EEvPKT0_PS1_.has_indirect_call, 0
	.section	.AMDGPU.csdata,"",@progbits
; Kernel info:
; codeLenInByte = 160
; TotalNumSgprs: 11
; NumVgprs: 6
; ScratchSize: 0
; MemoryBound: 0
; FloatMode: 240
; IeeeMode: 1
; LDSByteSize: 2048 bytes/workgroup (compile time only)
; SGPRBlocks: 1
; VGPRBlocks: 1
; NumSGPRsForWavesPerEU: 11
; NumVGPRsForWavesPerEU: 6
; Occupancy: 10
; WaveLimiterHint : 0
; COMPUTE_PGM_RSRC2:SCRATCH_EN: 0
; COMPUTE_PGM_RSRC2:USER_SGPR: 6
; COMPUTE_PGM_RSRC2:TRAP_HANDLER: 0
; COMPUTE_PGM_RSRC2:TGID_X_EN: 1
; COMPUTE_PGM_RSRC2:TGID_Y_EN: 0
; COMPUTE_PGM_RSRC2:TGID_Z_EN: 0
; COMPUTE_PGM_RSRC2:TIDIG_COMP_CNT: 0
	.section	.text._Z6kernelI2upxLj256ELj3ELj100EEvPKT0_PS1_,"axG",@progbits,_Z6kernelI2upxLj256ELj3ELj100EEvPKT0_PS1_,comdat
	.protected	_Z6kernelI2upxLj256ELj3ELj100EEvPKT0_PS1_ ; -- Begin function _Z6kernelI2upxLj256ELj3ELj100EEvPKT0_PS1_
	.globl	_Z6kernelI2upxLj256ELj3ELj100EEvPKT0_PS1_
	.p2align	8
	.type	_Z6kernelI2upxLj256ELj3ELj100EEvPKT0_PS1_,@function
_Z6kernelI2upxLj256ELj3ELj100EEvPKT0_PS1_: ; @_Z6kernelI2upxLj256ELj3ELj100EEvPKT0_PS1_
; %bb.0:
	s_load_dwordx4 s[0:3], s[4:5], 0x0
	v_lshl_or_b32 v1, s6, 8, v0
	v_lshl_add_u32 v5, v1, 1, v1
	v_mov_b32_e32 v6, 0
	v_lshlrev_b64 v[1:2], 3, v[5:6]
	s_waitcnt lgkmcnt(0)
	v_mov_b32_e32 v3, s1
	v_add_co_u32_e32 v11, vcc, s0, v1
	v_addc_co_u32_e32 v12, vcc, v3, v2, vcc
	v_add_u32_e32 v3, 1, v5
	v_mov_b32_e32 v4, v6
	v_lshlrev_b64 v[3:4], 3, v[3:4]
	v_add_u32_e32 v5, 2, v5
	v_mov_b32_e32 v7, s1
	v_add_co_u32_e32 v15, vcc, s0, v3
	v_lshlrev_b64 v[5:6], 3, v[5:6]
	v_addc_co_u32_e32 v16, vcc, v7, v4, vcc
	v_add_co_u32_e32 v17, vcc, s0, v5
	v_addc_co_u32_e32 v18, vcc, v7, v6, vcc
	global_load_dwordx2 v[9:10], v[11:12], off
	global_load_dwordx2 v[7:8], v[15:16], off
	;; [unrolled: 1-line block ×3, first 2 shown]
	v_lshlrev_b32_e32 v15, 3, v0
	v_cmp_ne_u32_e32 vcc, 0, v0
	v_add_u32_e32 v0, -8, v15
	s_movk_i32 s4, 0x64
.LBB39_1:                               ; =>This Inner Loop Header: Depth=1
	s_waitcnt vmcnt(1)
	v_mov_b32_e32 v12, v8
	v_mov_b32_e32 v11, v7
	;; [unrolled: 1-line block ×4, first 2 shown]
	s_waitcnt vmcnt(0)
	ds_write_b64 v15, v[13:14]
	s_waitcnt lgkmcnt(0)
	s_barrier
	s_and_saveexec_b64 s[0:1], vcc
; %bb.2:                                ;   in Loop: Header=BB39_1 Depth=1
	ds_read_b64 v[9:10], v0
; %bb.3:                                ;   in Loop: Header=BB39_1 Depth=1
	s_or_b64 exec, exec, s[0:1]
	s_add_i32 s4, s4, -1
	s_cmp_lg_u32 s4, 0
	s_waitcnt lgkmcnt(0)
	s_barrier
	s_cbranch_scc0 .LBB39_5
; %bb.4:                                ;   in Loop: Header=BB39_1 Depth=1
	v_mov_b32_e32 v14, v12
	v_mov_b32_e32 v13, v11
	s_branch .LBB39_1
.LBB39_5:
	v_mov_b32_e32 v13, s3
	v_add_co_u32_e32 v0, vcc, s2, v1
	v_addc_co_u32_e32 v1, vcc, v13, v2, vcc
	global_store_dwordx2 v[0:1], v[9:10], off
	v_mov_b32_e32 v1, s3
	v_add_co_u32_e32 v0, vcc, s2, v3
	v_addc_co_u32_e32 v1, vcc, v1, v4, vcc
	global_store_dwordx2 v[0:1], v[7:8], off
	;; [unrolled: 4-line block ×3, first 2 shown]
	s_endpgm
	.section	.rodata,"a",@progbits
	.p2align	6, 0x0
	.amdhsa_kernel _Z6kernelI2upxLj256ELj3ELj100EEvPKT0_PS1_
		.amdhsa_group_segment_fixed_size 2048
		.amdhsa_private_segment_fixed_size 0
		.amdhsa_kernarg_size 16
		.amdhsa_user_sgpr_count 6
		.amdhsa_user_sgpr_private_segment_buffer 1
		.amdhsa_user_sgpr_dispatch_ptr 0
		.amdhsa_user_sgpr_queue_ptr 0
		.amdhsa_user_sgpr_kernarg_segment_ptr 1
		.amdhsa_user_sgpr_dispatch_id 0
		.amdhsa_user_sgpr_flat_scratch_init 0
		.amdhsa_user_sgpr_private_segment_size 0
		.amdhsa_uses_dynamic_stack 0
		.amdhsa_system_sgpr_private_segment_wavefront_offset 0
		.amdhsa_system_sgpr_workgroup_id_x 1
		.amdhsa_system_sgpr_workgroup_id_y 0
		.amdhsa_system_sgpr_workgroup_id_z 0
		.amdhsa_system_sgpr_workgroup_info 0
		.amdhsa_system_vgpr_workitem_id 0
		.amdhsa_next_free_vgpr 19
		.amdhsa_next_free_sgpr 7
		.amdhsa_reserve_vcc 1
		.amdhsa_reserve_flat_scratch 0
		.amdhsa_float_round_mode_32 0
		.amdhsa_float_round_mode_16_64 0
		.amdhsa_float_denorm_mode_32 3
		.amdhsa_float_denorm_mode_16_64 3
		.amdhsa_dx10_clamp 1
		.amdhsa_ieee_mode 1
		.amdhsa_fp16_overflow 0
		.amdhsa_exception_fp_ieee_invalid_op 0
		.amdhsa_exception_fp_denorm_src 0
		.amdhsa_exception_fp_ieee_div_zero 0
		.amdhsa_exception_fp_ieee_overflow 0
		.amdhsa_exception_fp_ieee_underflow 0
		.amdhsa_exception_fp_ieee_inexact 0
		.amdhsa_exception_int_div_zero 0
	.end_amdhsa_kernel
	.section	.text._Z6kernelI2upxLj256ELj3ELj100EEvPKT0_PS1_,"axG",@progbits,_Z6kernelI2upxLj256ELj3ELj100EEvPKT0_PS1_,comdat
.Lfunc_end39:
	.size	_Z6kernelI2upxLj256ELj3ELj100EEvPKT0_PS1_, .Lfunc_end39-_Z6kernelI2upxLj256ELj3ELj100EEvPKT0_PS1_
                                        ; -- End function
	.set _Z6kernelI2upxLj256ELj3ELj100EEvPKT0_PS1_.num_vgpr, 19
	.set _Z6kernelI2upxLj256ELj3ELj100EEvPKT0_PS1_.num_agpr, 0
	.set _Z6kernelI2upxLj256ELj3ELj100EEvPKT0_PS1_.numbered_sgpr, 7
	.set _Z6kernelI2upxLj256ELj3ELj100EEvPKT0_PS1_.num_named_barrier, 0
	.set _Z6kernelI2upxLj256ELj3ELj100EEvPKT0_PS1_.private_seg_size, 0
	.set _Z6kernelI2upxLj256ELj3ELj100EEvPKT0_PS1_.uses_vcc, 1
	.set _Z6kernelI2upxLj256ELj3ELj100EEvPKT0_PS1_.uses_flat_scratch, 0
	.set _Z6kernelI2upxLj256ELj3ELj100EEvPKT0_PS1_.has_dyn_sized_stack, 0
	.set _Z6kernelI2upxLj256ELj3ELj100EEvPKT0_PS1_.has_recursion, 0
	.set _Z6kernelI2upxLj256ELj3ELj100EEvPKT0_PS1_.has_indirect_call, 0
	.section	.AMDGPU.csdata,"",@progbits
; Kernel info:
; codeLenInByte = 292
; TotalNumSgprs: 11
; NumVgprs: 19
; ScratchSize: 0
; MemoryBound: 0
; FloatMode: 240
; IeeeMode: 1
; LDSByteSize: 2048 bytes/workgroup (compile time only)
; SGPRBlocks: 1
; VGPRBlocks: 4
; NumSGPRsForWavesPerEU: 11
; NumVGPRsForWavesPerEU: 19
; Occupancy: 10
; WaveLimiterHint : 0
; COMPUTE_PGM_RSRC2:SCRATCH_EN: 0
; COMPUTE_PGM_RSRC2:USER_SGPR: 6
; COMPUTE_PGM_RSRC2:TRAP_HANDLER: 0
; COMPUTE_PGM_RSRC2:TGID_X_EN: 1
; COMPUTE_PGM_RSRC2:TGID_Y_EN: 0
; COMPUTE_PGM_RSRC2:TGID_Z_EN: 0
; COMPUTE_PGM_RSRC2:TIDIG_COMP_CNT: 0
	.section	.text._Z6kernelI2upxLj256ELj4ELj100EEvPKT0_PS1_,"axG",@progbits,_Z6kernelI2upxLj256ELj4ELj100EEvPKT0_PS1_,comdat
	.protected	_Z6kernelI2upxLj256ELj4ELj100EEvPKT0_PS1_ ; -- Begin function _Z6kernelI2upxLj256ELj4ELj100EEvPKT0_PS1_
	.globl	_Z6kernelI2upxLj256ELj4ELj100EEvPKT0_PS1_
	.p2align	8
	.type	_Z6kernelI2upxLj256ELj4ELj100EEvPKT0_PS1_,@function
_Z6kernelI2upxLj256ELj4ELj100EEvPKT0_PS1_: ; @_Z6kernelI2upxLj256ELj4ELj100EEvPKT0_PS1_
; %bb.0:
	s_load_dwordx4 s[0:3], s[4:5], 0x0
	v_lshlrev_b32_e32 v1, 2, v0
	v_lshl_or_b32 v1, s6, 10, v1
	v_mov_b32_e32 v2, 0
	v_lshlrev_b64 v[9:10], 3, v[1:2]
	s_waitcnt lgkmcnt(0)
	v_mov_b32_e32 v1, s1
	v_add_co_u32_e32 v11, vcc, s0, v9
	v_addc_co_u32_e32 v12, vcc, v1, v10, vcc
	global_load_dwordx4 v[1:4], v[11:12], off offset:16
	global_load_dwordx4 v[5:8], v[11:12], off
	v_lshlrev_b32_e32 v13, 3, v0
	v_cmp_ne_u32_e32 vcc, 0, v0
	v_add_u32_e32 v0, -8, v13
	s_movk_i32 s4, 0x64
.LBB40_1:                               ; =>This Inner Loop Header: Depth=1
	s_waitcnt vmcnt(1)
	v_mov_b32_e32 v12, v2
	v_mov_b32_e32 v11, v1
	s_waitcnt vmcnt(0)
	v_mov_b32_e32 v1, v7
	v_mov_b32_e32 v2, v8
	;; [unrolled: 1-line block ×4, first 2 shown]
	ds_write_b64 v13, v[3:4]
	s_waitcnt lgkmcnt(0)
	s_barrier
	s_and_saveexec_b64 s[0:1], vcc
; %bb.2:                                ;   in Loop: Header=BB40_1 Depth=1
	ds_read_b64 v[5:6], v0
; %bb.3:                                ;   in Loop: Header=BB40_1 Depth=1
	s_or_b64 exec, exec, s[0:1]
	s_add_i32 s4, s4, -1
	s_cmp_lg_u32 s4, 0
	s_waitcnt lgkmcnt(0)
	s_barrier
	s_cbranch_scc0 .LBB40_5
; %bb.4:                                ;   in Loop: Header=BB40_1 Depth=1
	v_mov_b32_e32 v3, v11
	v_mov_b32_e32 v4, v12
	s_branch .LBB40_1
.LBB40_5:
	v_mov_b32_e32 v0, s3
	v_add_co_u32_e32 v9, vcc, s2, v9
	v_addc_co_u32_e32 v10, vcc, v0, v10, vcc
	v_mov_b32_e32 v3, v11
	v_mov_b32_e32 v4, v12
	global_store_dwordx4 v[9:10], v[5:8], off
	global_store_dwordx4 v[9:10], v[1:4], off offset:16
	s_endpgm
	.section	.rodata,"a",@progbits
	.p2align	6, 0x0
	.amdhsa_kernel _Z6kernelI2upxLj256ELj4ELj100EEvPKT0_PS1_
		.amdhsa_group_segment_fixed_size 2048
		.amdhsa_private_segment_fixed_size 0
		.amdhsa_kernarg_size 16
		.amdhsa_user_sgpr_count 6
		.amdhsa_user_sgpr_private_segment_buffer 1
		.amdhsa_user_sgpr_dispatch_ptr 0
		.amdhsa_user_sgpr_queue_ptr 0
		.amdhsa_user_sgpr_kernarg_segment_ptr 1
		.amdhsa_user_sgpr_dispatch_id 0
		.amdhsa_user_sgpr_flat_scratch_init 0
		.amdhsa_user_sgpr_private_segment_size 0
		.amdhsa_uses_dynamic_stack 0
		.amdhsa_system_sgpr_private_segment_wavefront_offset 0
		.amdhsa_system_sgpr_workgroup_id_x 1
		.amdhsa_system_sgpr_workgroup_id_y 0
		.amdhsa_system_sgpr_workgroup_id_z 0
		.amdhsa_system_sgpr_workgroup_info 0
		.amdhsa_system_vgpr_workitem_id 0
		.amdhsa_next_free_vgpr 14
		.amdhsa_next_free_sgpr 7
		.amdhsa_reserve_vcc 1
		.amdhsa_reserve_flat_scratch 0
		.amdhsa_float_round_mode_32 0
		.amdhsa_float_round_mode_16_64 0
		.amdhsa_float_denorm_mode_32 3
		.amdhsa_float_denorm_mode_16_64 3
		.amdhsa_dx10_clamp 1
		.amdhsa_ieee_mode 1
		.amdhsa_fp16_overflow 0
		.amdhsa_exception_fp_ieee_invalid_op 0
		.amdhsa_exception_fp_denorm_src 0
		.amdhsa_exception_fp_ieee_div_zero 0
		.amdhsa_exception_fp_ieee_overflow 0
		.amdhsa_exception_fp_ieee_underflow 0
		.amdhsa_exception_fp_ieee_inexact 0
		.amdhsa_exception_int_div_zero 0
	.end_amdhsa_kernel
	.section	.text._Z6kernelI2upxLj256ELj4ELj100EEvPKT0_PS1_,"axG",@progbits,_Z6kernelI2upxLj256ELj4ELj100EEvPKT0_PS1_,comdat
.Lfunc_end40:
	.size	_Z6kernelI2upxLj256ELj4ELj100EEvPKT0_PS1_, .Lfunc_end40-_Z6kernelI2upxLj256ELj4ELj100EEvPKT0_PS1_
                                        ; -- End function
	.set _Z6kernelI2upxLj256ELj4ELj100EEvPKT0_PS1_.num_vgpr, 14
	.set _Z6kernelI2upxLj256ELj4ELj100EEvPKT0_PS1_.num_agpr, 0
	.set _Z6kernelI2upxLj256ELj4ELj100EEvPKT0_PS1_.numbered_sgpr, 7
	.set _Z6kernelI2upxLj256ELj4ELj100EEvPKT0_PS1_.num_named_barrier, 0
	.set _Z6kernelI2upxLj256ELj4ELj100EEvPKT0_PS1_.private_seg_size, 0
	.set _Z6kernelI2upxLj256ELj4ELj100EEvPKT0_PS1_.uses_vcc, 1
	.set _Z6kernelI2upxLj256ELj4ELj100EEvPKT0_PS1_.uses_flat_scratch, 0
	.set _Z6kernelI2upxLj256ELj4ELj100EEvPKT0_PS1_.has_dyn_sized_stack, 0
	.set _Z6kernelI2upxLj256ELj4ELj100EEvPKT0_PS1_.has_recursion, 0
	.set _Z6kernelI2upxLj256ELj4ELj100EEvPKT0_PS1_.has_indirect_call, 0
	.section	.AMDGPU.csdata,"",@progbits
; Kernel info:
; codeLenInByte = 216
; TotalNumSgprs: 11
; NumVgprs: 14
; ScratchSize: 0
; MemoryBound: 0
; FloatMode: 240
; IeeeMode: 1
; LDSByteSize: 2048 bytes/workgroup (compile time only)
; SGPRBlocks: 1
; VGPRBlocks: 3
; NumSGPRsForWavesPerEU: 11
; NumVGPRsForWavesPerEU: 14
; Occupancy: 10
; WaveLimiterHint : 0
; COMPUTE_PGM_RSRC2:SCRATCH_EN: 0
; COMPUTE_PGM_RSRC2:USER_SGPR: 6
; COMPUTE_PGM_RSRC2:TRAP_HANDLER: 0
; COMPUTE_PGM_RSRC2:TGID_X_EN: 1
; COMPUTE_PGM_RSRC2:TGID_Y_EN: 0
; COMPUTE_PGM_RSRC2:TGID_Z_EN: 0
; COMPUTE_PGM_RSRC2:TIDIG_COMP_CNT: 0
	.section	.text._Z6kernelI2upxLj256ELj8ELj100EEvPKT0_PS1_,"axG",@progbits,_Z6kernelI2upxLj256ELj8ELj100EEvPKT0_PS1_,comdat
	.protected	_Z6kernelI2upxLj256ELj8ELj100EEvPKT0_PS1_ ; -- Begin function _Z6kernelI2upxLj256ELj8ELj100EEvPKT0_PS1_
	.globl	_Z6kernelI2upxLj256ELj8ELj100EEvPKT0_PS1_
	.p2align	8
	.type	_Z6kernelI2upxLj256ELj8ELj100EEvPKT0_PS1_,@function
_Z6kernelI2upxLj256ELj8ELj100EEvPKT0_PS1_: ; @_Z6kernelI2upxLj256ELj8ELj100EEvPKT0_PS1_
; %bb.0:
	s_load_dwordx4 s[0:3], s[4:5], 0x0
	v_lshlrev_b32_e32 v21, 3, v0
	v_lshl_or_b32 v1, s6, 11, v21
	v_mov_b32_e32 v2, 0
	v_lshlrev_b64 v[19:20], 3, v[1:2]
	s_waitcnt lgkmcnt(0)
	v_mov_b32_e32 v1, s1
	v_add_co_u32_e32 v17, vcc, s0, v19
	v_addc_co_u32_e32 v18, vcc, v1, v20, vcc
	global_load_dwordx4 v[1:4], v[17:18], off offset:48
	global_load_dwordx4 v[5:8], v[17:18], off offset:32
	;; [unrolled: 1-line block ×3, first 2 shown]
	global_load_dwordx4 v[13:16], v[17:18], off
	v_cmp_ne_u32_e32 vcc, 0, v0
	v_add_u32_e32 v0, -8, v21
	s_movk_i32 s4, 0x64
.LBB41_1:                               ; =>This Inner Loop Header: Depth=1
	s_waitcnt vmcnt(0)
	v_mov_b32_e32 v18, v14
	v_mov_b32_e32 v17, v13
	ds_write_b64 v21, v[3:4]
	s_waitcnt lgkmcnt(0)
	s_barrier
	s_and_saveexec_b64 s[0:1], vcc
; %bb.2:                                ;   in Loop: Header=BB41_1 Depth=1
	ds_read_b64 v[17:18], v0
; %bb.3:                                ;   in Loop: Header=BB41_1 Depth=1
	s_or_b64 exec, exec, s[0:1]
	s_add_i32 s4, s4, -1
	s_cmp_lg_u32 s4, 0
	s_waitcnt lgkmcnt(0)
	s_barrier
	s_cbranch_scc0 .LBB41_5
; %bb.4:                                ;   in Loop: Header=BB41_1 Depth=1
	v_mov_b32_e32 v4, v2
	v_mov_b32_e32 v3, v1
	;; [unrolled: 1-line block ×16, first 2 shown]
	s_branch .LBB41_1
.LBB41_5:
	v_mov_b32_e32 v0, s3
	v_add_co_u32_e32 v21, vcc, s2, v19
	v_addc_co_u32_e32 v22, vcc, v0, v20, vcc
	v_mov_b32_e32 v3, v11
	v_mov_b32_e32 v4, v12
	;; [unrolled: 1-line block ×8, first 2 shown]
	global_store_dwordx4 v[21:22], v[3:6], off offset:32
	global_store_dwordx4 v[21:22], v[17:20], off
	v_mov_b32_e32 v3, v7
	v_mov_b32_e32 v4, v8
	;; [unrolled: 1-line block ×4, first 2 shown]
	global_store_dwordx4 v[21:22], v[13:16], off offset:16
	global_store_dwordx4 v[21:22], v[3:6], off offset:48
	s_endpgm
	.section	.rodata,"a",@progbits
	.p2align	6, 0x0
	.amdhsa_kernel _Z6kernelI2upxLj256ELj8ELj100EEvPKT0_PS1_
		.amdhsa_group_segment_fixed_size 2048
		.amdhsa_private_segment_fixed_size 0
		.amdhsa_kernarg_size 16
		.amdhsa_user_sgpr_count 6
		.amdhsa_user_sgpr_private_segment_buffer 1
		.amdhsa_user_sgpr_dispatch_ptr 0
		.amdhsa_user_sgpr_queue_ptr 0
		.amdhsa_user_sgpr_kernarg_segment_ptr 1
		.amdhsa_user_sgpr_dispatch_id 0
		.amdhsa_user_sgpr_flat_scratch_init 0
		.amdhsa_user_sgpr_private_segment_size 0
		.amdhsa_uses_dynamic_stack 0
		.amdhsa_system_sgpr_private_segment_wavefront_offset 0
		.amdhsa_system_sgpr_workgroup_id_x 1
		.amdhsa_system_sgpr_workgroup_id_y 0
		.amdhsa_system_sgpr_workgroup_id_z 0
		.amdhsa_system_sgpr_workgroup_info 0
		.amdhsa_system_vgpr_workitem_id 0
		.amdhsa_next_free_vgpr 23
		.amdhsa_next_free_sgpr 7
		.amdhsa_reserve_vcc 1
		.amdhsa_reserve_flat_scratch 0
		.amdhsa_float_round_mode_32 0
		.amdhsa_float_round_mode_16_64 0
		.amdhsa_float_denorm_mode_32 3
		.amdhsa_float_denorm_mode_16_64 3
		.amdhsa_dx10_clamp 1
		.amdhsa_ieee_mode 1
		.amdhsa_fp16_overflow 0
		.amdhsa_exception_fp_ieee_invalid_op 0
		.amdhsa_exception_fp_denorm_src 0
		.amdhsa_exception_fp_ieee_div_zero 0
		.amdhsa_exception_fp_ieee_overflow 0
		.amdhsa_exception_fp_ieee_underflow 0
		.amdhsa_exception_fp_ieee_inexact 0
		.amdhsa_exception_int_div_zero 0
	.end_amdhsa_kernel
	.section	.text._Z6kernelI2upxLj256ELj8ELj100EEvPKT0_PS1_,"axG",@progbits,_Z6kernelI2upxLj256ELj8ELj100EEvPKT0_PS1_,comdat
.Lfunc_end41:
	.size	_Z6kernelI2upxLj256ELj8ELj100EEvPKT0_PS1_, .Lfunc_end41-_Z6kernelI2upxLj256ELj8ELj100EEvPKT0_PS1_
                                        ; -- End function
	.set _Z6kernelI2upxLj256ELj8ELj100EEvPKT0_PS1_.num_vgpr, 23
	.set _Z6kernelI2upxLj256ELj8ELj100EEvPKT0_PS1_.num_agpr, 0
	.set _Z6kernelI2upxLj256ELj8ELj100EEvPKT0_PS1_.numbered_sgpr, 7
	.set _Z6kernelI2upxLj256ELj8ELj100EEvPKT0_PS1_.num_named_barrier, 0
	.set _Z6kernelI2upxLj256ELj8ELj100EEvPKT0_PS1_.private_seg_size, 0
	.set _Z6kernelI2upxLj256ELj8ELj100EEvPKT0_PS1_.uses_vcc, 1
	.set _Z6kernelI2upxLj256ELj8ELj100EEvPKT0_PS1_.uses_flat_scratch, 0
	.set _Z6kernelI2upxLj256ELj8ELj100EEvPKT0_PS1_.has_dyn_sized_stack, 0
	.set _Z6kernelI2upxLj256ELj8ELj100EEvPKT0_PS1_.has_recursion, 0
	.set _Z6kernelI2upxLj256ELj8ELj100EEvPKT0_PS1_.has_indirect_call, 0
	.section	.AMDGPU.csdata,"",@progbits
; Kernel info:
; codeLenInByte = 320
; TotalNumSgprs: 11
; NumVgprs: 23
; ScratchSize: 0
; MemoryBound: 1
; FloatMode: 240
; IeeeMode: 1
; LDSByteSize: 2048 bytes/workgroup (compile time only)
; SGPRBlocks: 1
; VGPRBlocks: 5
; NumSGPRsForWavesPerEU: 11
; NumVGPRsForWavesPerEU: 23
; Occupancy: 10
; WaveLimiterHint : 0
; COMPUTE_PGM_RSRC2:SCRATCH_EN: 0
; COMPUTE_PGM_RSRC2:USER_SGPR: 6
; COMPUTE_PGM_RSRC2:TRAP_HANDLER: 0
; COMPUTE_PGM_RSRC2:TGID_X_EN: 1
; COMPUTE_PGM_RSRC2:TGID_Y_EN: 0
; COMPUTE_PGM_RSRC2:TGID_Z_EN: 0
; COMPUTE_PGM_RSRC2:TIDIG_COMP_CNT: 0
	.section	.text._Z6kernelI2upxLj256ELj16ELj100EEvPKT0_PS1_,"axG",@progbits,_Z6kernelI2upxLj256ELj16ELj100EEvPKT0_PS1_,comdat
	.protected	_Z6kernelI2upxLj256ELj16ELj100EEvPKT0_PS1_ ; -- Begin function _Z6kernelI2upxLj256ELj16ELj100EEvPKT0_PS1_
	.globl	_Z6kernelI2upxLj256ELj16ELj100EEvPKT0_PS1_
	.p2align	8
	.type	_Z6kernelI2upxLj256ELj16ELj100EEvPKT0_PS1_,@function
_Z6kernelI2upxLj256ELj16ELj100EEvPKT0_PS1_: ; @_Z6kernelI2upxLj256ELj16ELj100EEvPKT0_PS1_
; %bb.0:
	s_load_dwordx4 s[0:3], s[4:5], 0x0
	v_lshlrev_b32_e32 v1, 4, v0
	v_lshl_or_b32 v1, s6, 12, v1
	v_mov_b32_e32 v2, 0
	v_lshlrev_b64 v[35:36], 3, v[1:2]
	s_waitcnt lgkmcnt(0)
	v_mov_b32_e32 v1, s1
	v_add_co_u32_e32 v33, vcc, s0, v35
	v_addc_co_u32_e32 v34, vcc, v1, v36, vcc
	global_load_dwordx4 v[1:4], v[33:34], off offset:48
	global_load_dwordx4 v[5:8], v[33:34], off offset:32
	;; [unrolled: 1-line block ×3, first 2 shown]
	global_load_dwordx4 v[29:32], v[33:34], off
	global_load_dwordx4 v[9:12], v[33:34], off offset:112
	global_load_dwordx4 v[13:16], v[33:34], off offset:96
	;; [unrolled: 1-line block ×4, first 2 shown]
	v_lshlrev_b32_e32 v37, 3, v0
	v_cmp_ne_u32_e32 vcc, 0, v0
	v_add_u32_e32 v0, -8, v37
	s_movk_i32 s4, 0x64
.LBB42_1:                               ; =>This Inner Loop Header: Depth=1
	s_waitcnt vmcnt(4)
	v_mov_b32_e32 v34, v30
	v_mov_b32_e32 v33, v29
	s_waitcnt vmcnt(3)
	ds_write_b64 v37, v[11:12]
	s_waitcnt vmcnt(0) lgkmcnt(0)
	s_barrier
	s_and_saveexec_b64 s[0:1], vcc
; %bb.2:                                ;   in Loop: Header=BB42_1 Depth=1
	ds_read_b64 v[33:34], v0
; %bb.3:                                ;   in Loop: Header=BB42_1 Depth=1
	s_or_b64 exec, exec, s[0:1]
	s_add_i32 s4, s4, -1
	s_cmp_lg_u32 s4, 0
	s_waitcnt lgkmcnt(0)
	s_barrier
	s_cbranch_scc0 .LBB42_5
; %bb.4:                                ;   in Loop: Header=BB42_1 Depth=1
	v_mov_b32_e32 v12, v10
	v_mov_b32_e32 v11, v9
	;; [unrolled: 1-line block ×32, first 2 shown]
	s_branch .LBB42_1
.LBB42_5:
	v_mov_b32_e32 v0, s3
	v_add_co_u32_e32 v11, vcc, s2, v35
	v_addc_co_u32_e32 v12, vcc, v0, v36, vcc
	v_mov_b32_e32 v35, v29
	v_mov_b32_e32 v36, v30
	;; [unrolled: 1-line block ×18, first 2 shown]
	global_store_dwordx4 v[11:12], v[0:3], off offset:64
	global_store_dwordx4 v[11:12], v[33:36], off
	v_mov_b32_e32 v0, v23
	v_mov_b32_e32 v1, v24
	v_mov_b32_e32 v2, v17
	v_mov_b32_e32 v3, v18
	global_store_dwordx4 v[11:12], v[0:3], off offset:80
	global_store_dwordx4 v[11:12], v[29:32], off offset:16
	v_mov_b32_e32 v0, v19
	v_mov_b32_e32 v1, v20
	v_mov_b32_e32 v2, v13
	v_mov_b32_e32 v3, v14
	global_store_dwordx4 v[11:12], v[0:3], off offset:96
	global_store_dwordx4 v[11:12], v[25:28], off offset:32
	;; [unrolled: 6-line block ×3, first 2 shown]
	s_endpgm
	.section	.rodata,"a",@progbits
	.p2align	6, 0x0
	.amdhsa_kernel _Z6kernelI2upxLj256ELj16ELj100EEvPKT0_PS1_
		.amdhsa_group_segment_fixed_size 2048
		.amdhsa_private_segment_fixed_size 0
		.amdhsa_kernarg_size 16
		.amdhsa_user_sgpr_count 6
		.amdhsa_user_sgpr_private_segment_buffer 1
		.amdhsa_user_sgpr_dispatch_ptr 0
		.amdhsa_user_sgpr_queue_ptr 0
		.amdhsa_user_sgpr_kernarg_segment_ptr 1
		.amdhsa_user_sgpr_dispatch_id 0
		.amdhsa_user_sgpr_flat_scratch_init 0
		.amdhsa_user_sgpr_private_segment_size 0
		.amdhsa_uses_dynamic_stack 0
		.amdhsa_system_sgpr_private_segment_wavefront_offset 0
		.amdhsa_system_sgpr_workgroup_id_x 1
		.amdhsa_system_sgpr_workgroup_id_y 0
		.amdhsa_system_sgpr_workgroup_id_z 0
		.amdhsa_system_sgpr_workgroup_info 0
		.amdhsa_system_vgpr_workitem_id 0
		.amdhsa_next_free_vgpr 38
		.amdhsa_next_free_sgpr 7
		.amdhsa_reserve_vcc 1
		.amdhsa_reserve_flat_scratch 0
		.amdhsa_float_round_mode_32 0
		.amdhsa_float_round_mode_16_64 0
		.amdhsa_float_denorm_mode_32 3
		.amdhsa_float_denorm_mode_16_64 3
		.amdhsa_dx10_clamp 1
		.amdhsa_ieee_mode 1
		.amdhsa_fp16_overflow 0
		.amdhsa_exception_fp_ieee_invalid_op 0
		.amdhsa_exception_fp_denorm_src 0
		.amdhsa_exception_fp_ieee_div_zero 0
		.amdhsa_exception_fp_ieee_overflow 0
		.amdhsa_exception_fp_ieee_underflow 0
		.amdhsa_exception_fp_ieee_inexact 0
		.amdhsa_exception_int_div_zero 0
	.end_amdhsa_kernel
	.section	.text._Z6kernelI2upxLj256ELj16ELj100EEvPKT0_PS1_,"axG",@progbits,_Z6kernelI2upxLj256ELj16ELj100EEvPKT0_PS1_,comdat
.Lfunc_end42:
	.size	_Z6kernelI2upxLj256ELj16ELj100EEvPKT0_PS1_, .Lfunc_end42-_Z6kernelI2upxLj256ELj16ELj100EEvPKT0_PS1_
                                        ; -- End function
	.set _Z6kernelI2upxLj256ELj16ELj100EEvPKT0_PS1_.num_vgpr, 38
	.set _Z6kernelI2upxLj256ELj16ELj100EEvPKT0_PS1_.num_agpr, 0
	.set _Z6kernelI2upxLj256ELj16ELj100EEvPKT0_PS1_.numbered_sgpr, 7
	.set _Z6kernelI2upxLj256ELj16ELj100EEvPKT0_PS1_.num_named_barrier, 0
	.set _Z6kernelI2upxLj256ELj16ELj100EEvPKT0_PS1_.private_seg_size, 0
	.set _Z6kernelI2upxLj256ELj16ELj100EEvPKT0_PS1_.uses_vcc, 1
	.set _Z6kernelI2upxLj256ELj16ELj100EEvPKT0_PS1_.uses_flat_scratch, 0
	.set _Z6kernelI2upxLj256ELj16ELj100EEvPKT0_PS1_.has_dyn_sized_stack, 0
	.set _Z6kernelI2upxLj256ELj16ELj100EEvPKT0_PS1_.has_recursion, 0
	.set _Z6kernelI2upxLj256ELj16ELj100EEvPKT0_PS1_.has_indirect_call, 0
	.section	.AMDGPU.csdata,"",@progbits
; Kernel info:
; codeLenInByte = 528
; TotalNumSgprs: 11
; NumVgprs: 38
; ScratchSize: 0
; MemoryBound: 1
; FloatMode: 240
; IeeeMode: 1
; LDSByteSize: 2048 bytes/workgroup (compile time only)
; SGPRBlocks: 1
; VGPRBlocks: 9
; NumSGPRsForWavesPerEU: 11
; NumVGPRsForWavesPerEU: 38
; Occupancy: 6
; WaveLimiterHint : 0
; COMPUTE_PGM_RSRC2:SCRATCH_EN: 0
; COMPUTE_PGM_RSRC2:USER_SGPR: 6
; COMPUTE_PGM_RSRC2:TRAP_HANDLER: 0
; COMPUTE_PGM_RSRC2:TGID_X_EN: 1
; COMPUTE_PGM_RSRC2:TGID_Y_EN: 0
; COMPUTE_PGM_RSRC2:TGID_Z_EN: 0
; COMPUTE_PGM_RSRC2:TIDIG_COMP_CNT: 0
	.section	.text._Z6kernelI2upxLj256ELj32ELj100EEvPKT0_PS1_,"axG",@progbits,_Z6kernelI2upxLj256ELj32ELj100EEvPKT0_PS1_,comdat
	.protected	_Z6kernelI2upxLj256ELj32ELj100EEvPKT0_PS1_ ; -- Begin function _Z6kernelI2upxLj256ELj32ELj100EEvPKT0_PS1_
	.globl	_Z6kernelI2upxLj256ELj32ELj100EEvPKT0_PS1_
	.p2align	8
	.type	_Z6kernelI2upxLj256ELj32ELj100EEvPKT0_PS1_,@function
_Z6kernelI2upxLj256ELj32ELj100EEvPKT0_PS1_: ; @_Z6kernelI2upxLj256ELj32ELj100EEvPKT0_PS1_
; %bb.0:
	s_load_dwordx4 s[0:3], s[4:5], 0x0
	v_lshlrev_b32_e32 v1, 5, v0
	v_lshl_or_b32 v1, s6, 13, v1
	v_mov_b32_e32 v2, 0
	v_lshlrev_b64 v[67:68], 3, v[1:2]
	s_waitcnt lgkmcnt(0)
	v_mov_b32_e32 v1, s1
	v_add_co_u32_e32 v25, vcc, s0, v67
	v_addc_co_u32_e32 v26, vcc, v1, v68, vcc
	global_load_dwordx4 v[1:4], v[25:26], off offset:48
	global_load_dwordx4 v[5:8], v[25:26], off offset:32
	;; [unrolled: 1-line block ×3, first 2 shown]
	global_load_dwordx4 v[61:64], v[25:26], off
	global_load_dwordx4 v[37:40], v[25:26], off offset:112
	global_load_dwordx4 v[45:48], v[25:26], off offset:96
	;; [unrolled: 1-line block ×11, first 2 shown]
	s_nop 0
	global_load_dwordx4 v[25:28], v[25:26], off offset:192
	v_lshlrev_b32_e32 v69, 3, v0
	v_cmp_ne_u32_e32 vcc, 0, v0
	v_add_u32_e32 v0, -8, v69
	s_movk_i32 s4, 0x64
.LBB43_1:                               ; =>This Inner Loop Header: Depth=1
	s_waitcnt vmcnt(12)
	v_mov_b32_e32 v66, v62
	v_mov_b32_e32 v65, v61
	s_waitcnt vmcnt(3)
	ds_write_b64 v69, v[11:12]
	s_waitcnt vmcnt(0) lgkmcnt(0)
	s_barrier
	s_and_saveexec_b64 s[0:1], vcc
; %bb.2:                                ;   in Loop: Header=BB43_1 Depth=1
	ds_read_b64 v[65:66], v0
; %bb.3:                                ;   in Loop: Header=BB43_1 Depth=1
	s_or_b64 exec, exec, s[0:1]
	s_add_i32 s4, s4, -1
	s_cmp_lg_u32 s4, 0
	s_waitcnt lgkmcnt(0)
	s_barrier
	s_cbranch_scc0 .LBB43_5
; %bb.4:                                ;   in Loop: Header=BB43_1 Depth=1
	v_mov_b32_e32 v12, v10
	v_mov_b32_e32 v11, v9
	;; [unrolled: 1-line block ×64, first 2 shown]
	s_branch .LBB43_1
.LBB43_5:
	v_mov_b32_e32 v0, s3
	v_add_co_u32_e32 v11, vcc, s2, v67
	v_addc_co_u32_e32 v12, vcc, v0, v68, vcc
	v_mov_b32_e32 v67, v61
	v_mov_b32_e32 v68, v62
	;; [unrolled: 1-line block ×18, first 2 shown]
	global_store_dwordx4 v[11:12], v[0:3], off offset:64
	global_store_dwordx4 v[11:12], v[65:68], off
	v_mov_b32_e32 v0, v55
	v_mov_b32_e32 v1, v56
	v_mov_b32_e32 v2, v49
	v_mov_b32_e32 v3, v50
	global_store_dwordx4 v[11:12], v[0:3], off offset:80
	global_store_dwordx4 v[11:12], v[61:64], off offset:16
	v_mov_b32_e32 v0, v51
	v_mov_b32_e32 v1, v52
	v_mov_b32_e32 v2, v45
	v_mov_b32_e32 v3, v46
	global_store_dwordx4 v[11:12], v[0:3], off offset:96
	global_store_dwordx4 v[11:12], v[57:60], off offset:32
	;; [unrolled: 6-line block ×3, first 2 shown]
	v_mov_b32_e32 v0, v39
	v_mov_b32_e32 v1, v40
	v_mov_b32_e32 v2, v41
	v_mov_b32_e32 v3, v42
	global_store_dwordx4 v[11:12], v[0:3], off offset:128
	s_nop 0
	v_mov_b32_e32 v0, v43
	v_mov_b32_e32 v1, v44
	v_mov_b32_e32 v2, v33
	v_mov_b32_e32 v3, v34
	global_store_dwordx4 v[11:12], v[0:3], off offset:144
	s_nop 0
	;; [unrolled: 6-line block ×7, first 2 shown]
	v_mov_b32_e32 v0, v15
	v_mov_b32_e32 v1, v16
	;; [unrolled: 1-line block ×4, first 2 shown]
	global_store_dwordx4 v[11:12], v[0:3], off offset:240
	s_endpgm
	.section	.rodata,"a",@progbits
	.p2align	6, 0x0
	.amdhsa_kernel _Z6kernelI2upxLj256ELj32ELj100EEvPKT0_PS1_
		.amdhsa_group_segment_fixed_size 2048
		.amdhsa_private_segment_fixed_size 0
		.amdhsa_kernarg_size 16
		.amdhsa_user_sgpr_count 6
		.amdhsa_user_sgpr_private_segment_buffer 1
		.amdhsa_user_sgpr_dispatch_ptr 0
		.amdhsa_user_sgpr_queue_ptr 0
		.amdhsa_user_sgpr_kernarg_segment_ptr 1
		.amdhsa_user_sgpr_dispatch_id 0
		.amdhsa_user_sgpr_flat_scratch_init 0
		.amdhsa_user_sgpr_private_segment_size 0
		.amdhsa_uses_dynamic_stack 0
		.amdhsa_system_sgpr_private_segment_wavefront_offset 0
		.amdhsa_system_sgpr_workgroup_id_x 1
		.amdhsa_system_sgpr_workgroup_id_y 0
		.amdhsa_system_sgpr_workgroup_id_z 0
		.amdhsa_system_sgpr_workgroup_info 0
		.amdhsa_system_vgpr_workitem_id 0
		.amdhsa_next_free_vgpr 70
		.amdhsa_next_free_sgpr 7
		.amdhsa_reserve_vcc 1
		.amdhsa_reserve_flat_scratch 0
		.amdhsa_float_round_mode_32 0
		.amdhsa_float_round_mode_16_64 0
		.amdhsa_float_denorm_mode_32 3
		.amdhsa_float_denorm_mode_16_64 3
		.amdhsa_dx10_clamp 1
		.amdhsa_ieee_mode 1
		.amdhsa_fp16_overflow 0
		.amdhsa_exception_fp_ieee_invalid_op 0
		.amdhsa_exception_fp_denorm_src 0
		.amdhsa_exception_fp_ieee_div_zero 0
		.amdhsa_exception_fp_ieee_overflow 0
		.amdhsa_exception_fp_ieee_underflow 0
		.amdhsa_exception_fp_ieee_inexact 0
		.amdhsa_exception_int_div_zero 0
	.end_amdhsa_kernel
	.section	.text._Z6kernelI2upxLj256ELj32ELj100EEvPKT0_PS1_,"axG",@progbits,_Z6kernelI2upxLj256ELj32ELj100EEvPKT0_PS1_,comdat
.Lfunc_end43:
	.size	_Z6kernelI2upxLj256ELj32ELj100EEvPKT0_PS1_, .Lfunc_end43-_Z6kernelI2upxLj256ELj32ELj100EEvPKT0_PS1_
                                        ; -- End function
	.set _Z6kernelI2upxLj256ELj32ELj100EEvPKT0_PS1_.num_vgpr, 70
	.set _Z6kernelI2upxLj256ELj32ELj100EEvPKT0_PS1_.num_agpr, 0
	.set _Z6kernelI2upxLj256ELj32ELj100EEvPKT0_PS1_.numbered_sgpr, 7
	.set _Z6kernelI2upxLj256ELj32ELj100EEvPKT0_PS1_.num_named_barrier, 0
	.set _Z6kernelI2upxLj256ELj32ELj100EEvPKT0_PS1_.private_seg_size, 0
	.set _Z6kernelI2upxLj256ELj32ELj100EEvPKT0_PS1_.uses_vcc, 1
	.set _Z6kernelI2upxLj256ELj32ELj100EEvPKT0_PS1_.uses_flat_scratch, 0
	.set _Z6kernelI2upxLj256ELj32ELj100EEvPKT0_PS1_.has_dyn_sized_stack, 0
	.set _Z6kernelI2upxLj256ELj32ELj100EEvPKT0_PS1_.has_recursion, 0
	.set _Z6kernelI2upxLj256ELj32ELj100EEvPKT0_PS1_.has_indirect_call, 0
	.section	.AMDGPU.csdata,"",@progbits
; Kernel info:
; codeLenInByte = 944
; TotalNumSgprs: 11
; NumVgprs: 70
; ScratchSize: 0
; MemoryBound: 1
; FloatMode: 240
; IeeeMode: 1
; LDSByteSize: 2048 bytes/workgroup (compile time only)
; SGPRBlocks: 1
; VGPRBlocks: 17
; NumSGPRsForWavesPerEU: 11
; NumVGPRsForWavesPerEU: 70
; Occupancy: 3
; WaveLimiterHint : 0
; COMPUTE_PGM_RSRC2:SCRATCH_EN: 0
; COMPUTE_PGM_RSRC2:USER_SGPR: 6
; COMPUTE_PGM_RSRC2:TRAP_HANDLER: 0
; COMPUTE_PGM_RSRC2:TGID_X_EN: 1
; COMPUTE_PGM_RSRC2:TGID_Y_EN: 0
; COMPUTE_PGM_RSRC2:TGID_Z_EN: 0
; COMPUTE_PGM_RSRC2:TIDIG_COMP_CNT: 0
	.section	.text._Z6kernelI2upN15benchmark_utils11custom_typeIffEELj256ELj1ELj100EEvPKT0_PS4_,"axG",@progbits,_Z6kernelI2upN15benchmark_utils11custom_typeIffEELj256ELj1ELj100EEvPKT0_PS4_,comdat
	.protected	_Z6kernelI2upN15benchmark_utils11custom_typeIffEELj256ELj1ELj100EEvPKT0_PS4_ ; -- Begin function _Z6kernelI2upN15benchmark_utils11custom_typeIffEELj256ELj1ELj100EEvPKT0_PS4_
	.globl	_Z6kernelI2upN15benchmark_utils11custom_typeIffEELj256ELj1ELj100EEvPKT0_PS4_
	.p2align	8
	.type	_Z6kernelI2upN15benchmark_utils11custom_typeIffEELj256ELj1ELj100EEvPKT0_PS4_,@function
_Z6kernelI2upN15benchmark_utils11custom_typeIffEELj256ELj1ELj100EEvPKT0_PS4_: ; @_Z6kernelI2upN15benchmark_utils11custom_typeIffEELj256ELj1ELj100EEvPKT0_PS4_
; %bb.0:
	s_load_dwordx4 s[0:3], s[4:5], 0x0
	v_lshl_or_b32 v1, s6, 8, v0
	v_mov_b32_e32 v2, 0
	v_lshlrev_b64 v[1:2], 3, v[1:2]
	v_lshlrev_b32_e32 v5, 3, v0
	s_waitcnt lgkmcnt(0)
	v_mov_b32_e32 v4, s1
	v_add_co_u32_e32 v3, vcc, s0, v1
	v_addc_co_u32_e32 v4, vcc, v4, v2, vcc
	global_load_dwordx2 v[3:4], v[3:4], off
	v_cmp_ne_u32_e32 vcc, 0, v0
	v_add_u32_e32 v0, -8, v5
	s_movk_i32 s4, 0x64
	s_branch .LBB44_2
.LBB44_1:                               ;   in Loop: Header=BB44_2 Depth=1
	s_or_b64 exec, exec, s[0:1]
	s_add_i32 s4, s4, -1
	s_cmp_lg_u32 s4, 0
	s_waitcnt lgkmcnt(0)
	s_barrier
	s_cbranch_scc0 .LBB44_4
.LBB44_2:                               ; =>This Inner Loop Header: Depth=1
	s_waitcnt vmcnt(0)
	ds_write2_b32 v5, v3, v4 offset1:1
	s_waitcnt lgkmcnt(0)
	s_barrier
	s_and_saveexec_b64 s[0:1], vcc
	s_cbranch_execz .LBB44_1
; %bb.3:                                ;   in Loop: Header=BB44_2 Depth=1
	ds_read2_b32 v[3:4], v0 offset1:1
	s_branch .LBB44_1
.LBB44_4:
	v_mov_b32_e32 v5, s3
	v_add_co_u32_e32 v0, vcc, s2, v1
	v_addc_co_u32_e32 v1, vcc, v5, v2, vcc
	global_store_dwordx2 v[0:1], v[3:4], off
	s_endpgm
	.section	.rodata,"a",@progbits
	.p2align	6, 0x0
	.amdhsa_kernel _Z6kernelI2upN15benchmark_utils11custom_typeIffEELj256ELj1ELj100EEvPKT0_PS4_
		.amdhsa_group_segment_fixed_size 2048
		.amdhsa_private_segment_fixed_size 0
		.amdhsa_kernarg_size 16
		.amdhsa_user_sgpr_count 6
		.amdhsa_user_sgpr_private_segment_buffer 1
		.amdhsa_user_sgpr_dispatch_ptr 0
		.amdhsa_user_sgpr_queue_ptr 0
		.amdhsa_user_sgpr_kernarg_segment_ptr 1
		.amdhsa_user_sgpr_dispatch_id 0
		.amdhsa_user_sgpr_flat_scratch_init 0
		.amdhsa_user_sgpr_private_segment_size 0
		.amdhsa_uses_dynamic_stack 0
		.amdhsa_system_sgpr_private_segment_wavefront_offset 0
		.amdhsa_system_sgpr_workgroup_id_x 1
		.amdhsa_system_sgpr_workgroup_id_y 0
		.amdhsa_system_sgpr_workgroup_id_z 0
		.amdhsa_system_sgpr_workgroup_info 0
		.amdhsa_system_vgpr_workitem_id 0
		.amdhsa_next_free_vgpr 6
		.amdhsa_next_free_sgpr 7
		.amdhsa_reserve_vcc 1
		.amdhsa_reserve_flat_scratch 0
		.amdhsa_float_round_mode_32 0
		.amdhsa_float_round_mode_16_64 0
		.amdhsa_float_denorm_mode_32 3
		.amdhsa_float_denorm_mode_16_64 3
		.amdhsa_dx10_clamp 1
		.amdhsa_ieee_mode 1
		.amdhsa_fp16_overflow 0
		.amdhsa_exception_fp_ieee_invalid_op 0
		.amdhsa_exception_fp_denorm_src 0
		.amdhsa_exception_fp_ieee_div_zero 0
		.amdhsa_exception_fp_ieee_overflow 0
		.amdhsa_exception_fp_ieee_underflow 0
		.amdhsa_exception_fp_ieee_inexact 0
		.amdhsa_exception_int_div_zero 0
	.end_amdhsa_kernel
	.section	.text._Z6kernelI2upN15benchmark_utils11custom_typeIffEELj256ELj1ELj100EEvPKT0_PS4_,"axG",@progbits,_Z6kernelI2upN15benchmark_utils11custom_typeIffEELj256ELj1ELj100EEvPKT0_PS4_,comdat
.Lfunc_end44:
	.size	_Z6kernelI2upN15benchmark_utils11custom_typeIffEELj256ELj1ELj100EEvPKT0_PS4_, .Lfunc_end44-_Z6kernelI2upN15benchmark_utils11custom_typeIffEELj256ELj1ELj100EEvPKT0_PS4_
                                        ; -- End function
	.set _Z6kernelI2upN15benchmark_utils11custom_typeIffEELj256ELj1ELj100EEvPKT0_PS4_.num_vgpr, 6
	.set _Z6kernelI2upN15benchmark_utils11custom_typeIffEELj256ELj1ELj100EEvPKT0_PS4_.num_agpr, 0
	.set _Z6kernelI2upN15benchmark_utils11custom_typeIffEELj256ELj1ELj100EEvPKT0_PS4_.numbered_sgpr, 7
	.set _Z6kernelI2upN15benchmark_utils11custom_typeIffEELj256ELj1ELj100EEvPKT0_PS4_.num_named_barrier, 0
	.set _Z6kernelI2upN15benchmark_utils11custom_typeIffEELj256ELj1ELj100EEvPKT0_PS4_.private_seg_size, 0
	.set _Z6kernelI2upN15benchmark_utils11custom_typeIffEELj256ELj1ELj100EEvPKT0_PS4_.uses_vcc, 1
	.set _Z6kernelI2upN15benchmark_utils11custom_typeIffEELj256ELj1ELj100EEvPKT0_PS4_.uses_flat_scratch, 0
	.set _Z6kernelI2upN15benchmark_utils11custom_typeIffEELj256ELj1ELj100EEvPKT0_PS4_.has_dyn_sized_stack, 0
	.set _Z6kernelI2upN15benchmark_utils11custom_typeIffEELj256ELj1ELj100EEvPKT0_PS4_.has_recursion, 0
	.set _Z6kernelI2upN15benchmark_utils11custom_typeIffEELj256ELj1ELj100EEvPKT0_PS4_.has_indirect_call, 0
	.section	.AMDGPU.csdata,"",@progbits
; Kernel info:
; codeLenInByte = 160
; TotalNumSgprs: 11
; NumVgprs: 6
; ScratchSize: 0
; MemoryBound: 0
; FloatMode: 240
; IeeeMode: 1
; LDSByteSize: 2048 bytes/workgroup (compile time only)
; SGPRBlocks: 1
; VGPRBlocks: 1
; NumSGPRsForWavesPerEU: 11
; NumVGPRsForWavesPerEU: 6
; Occupancy: 10
; WaveLimiterHint : 0
; COMPUTE_PGM_RSRC2:SCRATCH_EN: 0
; COMPUTE_PGM_RSRC2:USER_SGPR: 6
; COMPUTE_PGM_RSRC2:TRAP_HANDLER: 0
; COMPUTE_PGM_RSRC2:TGID_X_EN: 1
; COMPUTE_PGM_RSRC2:TGID_Y_EN: 0
; COMPUTE_PGM_RSRC2:TGID_Z_EN: 0
; COMPUTE_PGM_RSRC2:TIDIG_COMP_CNT: 0
	.section	.text._Z6kernelI2upN15benchmark_utils11custom_typeIffEELj256ELj3ELj100EEvPKT0_PS4_,"axG",@progbits,_Z6kernelI2upN15benchmark_utils11custom_typeIffEELj256ELj3ELj100EEvPKT0_PS4_,comdat
	.protected	_Z6kernelI2upN15benchmark_utils11custom_typeIffEELj256ELj3ELj100EEvPKT0_PS4_ ; -- Begin function _Z6kernelI2upN15benchmark_utils11custom_typeIffEELj256ELj3ELj100EEvPKT0_PS4_
	.globl	_Z6kernelI2upN15benchmark_utils11custom_typeIffEELj256ELj3ELj100EEvPKT0_PS4_
	.p2align	8
	.type	_Z6kernelI2upN15benchmark_utils11custom_typeIffEELj256ELj3ELj100EEvPKT0_PS4_,@function
_Z6kernelI2upN15benchmark_utils11custom_typeIffEELj256ELj3ELj100EEvPKT0_PS4_: ; @_Z6kernelI2upN15benchmark_utils11custom_typeIffEELj256ELj3ELj100EEvPKT0_PS4_
; %bb.0:
	s_load_dwordx4 s[0:3], s[4:5], 0x0
	v_lshl_or_b32 v1, s6, 8, v0
	v_lshl_add_u32 v5, v1, 1, v1
	v_mov_b32_e32 v6, 0
	v_lshlrev_b64 v[1:2], 3, v[5:6]
	s_waitcnt lgkmcnt(0)
	v_mov_b32_e32 v3, s1
	v_add_co_u32_e32 v11, vcc, s0, v1
	v_addc_co_u32_e32 v12, vcc, v3, v2, vcc
	v_add_u32_e32 v3, 1, v5
	v_mov_b32_e32 v4, v6
	v_lshlrev_b64 v[3:4], 3, v[3:4]
	v_add_u32_e32 v5, 2, v5
	v_mov_b32_e32 v7, s1
	v_add_co_u32_e32 v15, vcc, s0, v3
	v_lshlrev_b64 v[5:6], 3, v[5:6]
	v_addc_co_u32_e32 v16, vcc, v7, v4, vcc
	v_add_co_u32_e32 v17, vcc, s0, v5
	v_addc_co_u32_e32 v18, vcc, v7, v6, vcc
	global_load_dwordx2 v[9:10], v[11:12], off
	global_load_dwordx2 v[7:8], v[15:16], off
	global_load_dwordx2 v[13:14], v[17:18], off
	v_lshlrev_b32_e32 v15, 3, v0
	v_cmp_ne_u32_e32 vcc, 0, v0
	v_add_u32_e32 v0, -8, v15
	s_movk_i32 s4, 0x64
.LBB45_1:                               ; =>This Inner Loop Header: Depth=1
	s_waitcnt vmcnt(2)
	v_mov_b32_e32 v12, v10
	v_mov_b32_e32 v11, v9
	s_waitcnt vmcnt(0)
	ds_write2_b32 v15, v13, v14 offset1:1
	s_waitcnt lgkmcnt(0)
	s_barrier
	s_and_saveexec_b64 s[0:1], vcc
; %bb.2:                                ;   in Loop: Header=BB45_1 Depth=1
	ds_read2_b32 v[11:12], v0 offset1:1
; %bb.3:                                ;   in Loop: Header=BB45_1 Depth=1
	s_or_b64 exec, exec, s[0:1]
	s_add_i32 s4, s4, -1
	s_cmp_lg_u32 s4, 0
	s_waitcnt lgkmcnt(0)
	s_barrier
	s_cbranch_scc0 .LBB45_5
; %bb.4:                                ;   in Loop: Header=BB45_1 Depth=1
	v_mov_b32_e32 v14, v8
	v_mov_b32_e32 v13, v7
	;; [unrolled: 1-line block ×6, first 2 shown]
	s_branch .LBB45_1
.LBB45_5:
	v_mov_b32_e32 v13, s3
	v_add_co_u32_e32 v0, vcc, s2, v1
	v_addc_co_u32_e32 v1, vcc, v13, v2, vcc
	global_store_dwordx2 v[0:1], v[11:12], off
	v_mov_b32_e32 v1, s3
	v_add_co_u32_e32 v0, vcc, s2, v3
	v_addc_co_u32_e32 v1, vcc, v1, v4, vcc
	global_store_dwordx2 v[0:1], v[9:10], off
	;; [unrolled: 4-line block ×3, first 2 shown]
	s_endpgm
	.section	.rodata,"a",@progbits
	.p2align	6, 0x0
	.amdhsa_kernel _Z6kernelI2upN15benchmark_utils11custom_typeIffEELj256ELj3ELj100EEvPKT0_PS4_
		.amdhsa_group_segment_fixed_size 2048
		.amdhsa_private_segment_fixed_size 0
		.amdhsa_kernarg_size 16
		.amdhsa_user_sgpr_count 6
		.amdhsa_user_sgpr_private_segment_buffer 1
		.amdhsa_user_sgpr_dispatch_ptr 0
		.amdhsa_user_sgpr_queue_ptr 0
		.amdhsa_user_sgpr_kernarg_segment_ptr 1
		.amdhsa_user_sgpr_dispatch_id 0
		.amdhsa_user_sgpr_flat_scratch_init 0
		.amdhsa_user_sgpr_private_segment_size 0
		.amdhsa_uses_dynamic_stack 0
		.amdhsa_system_sgpr_private_segment_wavefront_offset 0
		.amdhsa_system_sgpr_workgroup_id_x 1
		.amdhsa_system_sgpr_workgroup_id_y 0
		.amdhsa_system_sgpr_workgroup_id_z 0
		.amdhsa_system_sgpr_workgroup_info 0
		.amdhsa_system_vgpr_workitem_id 0
		.amdhsa_next_free_vgpr 19
		.amdhsa_next_free_sgpr 7
		.amdhsa_reserve_vcc 1
		.amdhsa_reserve_flat_scratch 0
		.amdhsa_float_round_mode_32 0
		.amdhsa_float_round_mode_16_64 0
		.amdhsa_float_denorm_mode_32 3
		.amdhsa_float_denorm_mode_16_64 3
		.amdhsa_dx10_clamp 1
		.amdhsa_ieee_mode 1
		.amdhsa_fp16_overflow 0
		.amdhsa_exception_fp_ieee_invalid_op 0
		.amdhsa_exception_fp_denorm_src 0
		.amdhsa_exception_fp_ieee_div_zero 0
		.amdhsa_exception_fp_ieee_overflow 0
		.amdhsa_exception_fp_ieee_underflow 0
		.amdhsa_exception_fp_ieee_inexact 0
		.amdhsa_exception_int_div_zero 0
	.end_amdhsa_kernel
	.section	.text._Z6kernelI2upN15benchmark_utils11custom_typeIffEELj256ELj3ELj100EEvPKT0_PS4_,"axG",@progbits,_Z6kernelI2upN15benchmark_utils11custom_typeIffEELj256ELj3ELj100EEvPKT0_PS4_,comdat
.Lfunc_end45:
	.size	_Z6kernelI2upN15benchmark_utils11custom_typeIffEELj256ELj3ELj100EEvPKT0_PS4_, .Lfunc_end45-_Z6kernelI2upN15benchmark_utils11custom_typeIffEELj256ELj3ELj100EEvPKT0_PS4_
                                        ; -- End function
	.set _Z6kernelI2upN15benchmark_utils11custom_typeIffEELj256ELj3ELj100EEvPKT0_PS4_.num_vgpr, 19
	.set _Z6kernelI2upN15benchmark_utils11custom_typeIffEELj256ELj3ELj100EEvPKT0_PS4_.num_agpr, 0
	.set _Z6kernelI2upN15benchmark_utils11custom_typeIffEELj256ELj3ELj100EEvPKT0_PS4_.numbered_sgpr, 7
	.set _Z6kernelI2upN15benchmark_utils11custom_typeIffEELj256ELj3ELj100EEvPKT0_PS4_.num_named_barrier, 0
	.set _Z6kernelI2upN15benchmark_utils11custom_typeIffEELj256ELj3ELj100EEvPKT0_PS4_.private_seg_size, 0
	.set _Z6kernelI2upN15benchmark_utils11custom_typeIffEELj256ELj3ELj100EEvPKT0_PS4_.uses_vcc, 1
	.set _Z6kernelI2upN15benchmark_utils11custom_typeIffEELj256ELj3ELj100EEvPKT0_PS4_.uses_flat_scratch, 0
	.set _Z6kernelI2upN15benchmark_utils11custom_typeIffEELj256ELj3ELj100EEvPKT0_PS4_.has_dyn_sized_stack, 0
	.set _Z6kernelI2upN15benchmark_utils11custom_typeIffEELj256ELj3ELj100EEvPKT0_PS4_.has_recursion, 0
	.set _Z6kernelI2upN15benchmark_utils11custom_typeIffEELj256ELj3ELj100EEvPKT0_PS4_.has_indirect_call, 0
	.section	.AMDGPU.csdata,"",@progbits
; Kernel info:
; codeLenInByte = 300
; TotalNumSgprs: 11
; NumVgprs: 19
; ScratchSize: 0
; MemoryBound: 0
; FloatMode: 240
; IeeeMode: 1
; LDSByteSize: 2048 bytes/workgroup (compile time only)
; SGPRBlocks: 1
; VGPRBlocks: 4
; NumSGPRsForWavesPerEU: 11
; NumVGPRsForWavesPerEU: 19
; Occupancy: 10
; WaveLimiterHint : 0
; COMPUTE_PGM_RSRC2:SCRATCH_EN: 0
; COMPUTE_PGM_RSRC2:USER_SGPR: 6
; COMPUTE_PGM_RSRC2:TRAP_HANDLER: 0
; COMPUTE_PGM_RSRC2:TGID_X_EN: 1
; COMPUTE_PGM_RSRC2:TGID_Y_EN: 0
; COMPUTE_PGM_RSRC2:TGID_Z_EN: 0
; COMPUTE_PGM_RSRC2:TIDIG_COMP_CNT: 0
	.section	.text._Z6kernelI2upN15benchmark_utils11custom_typeIffEELj256ELj4ELj100EEvPKT0_PS4_,"axG",@progbits,_Z6kernelI2upN15benchmark_utils11custom_typeIffEELj256ELj4ELj100EEvPKT0_PS4_,comdat
	.protected	_Z6kernelI2upN15benchmark_utils11custom_typeIffEELj256ELj4ELj100EEvPKT0_PS4_ ; -- Begin function _Z6kernelI2upN15benchmark_utils11custom_typeIffEELj256ELj4ELj100EEvPKT0_PS4_
	.globl	_Z6kernelI2upN15benchmark_utils11custom_typeIffEELj256ELj4ELj100EEvPKT0_PS4_
	.p2align	8
	.type	_Z6kernelI2upN15benchmark_utils11custom_typeIffEELj256ELj4ELj100EEvPKT0_PS4_,@function
_Z6kernelI2upN15benchmark_utils11custom_typeIffEELj256ELj4ELj100EEvPKT0_PS4_: ; @_Z6kernelI2upN15benchmark_utils11custom_typeIffEELj256ELj4ELj100EEvPKT0_PS4_
; %bb.0:
	s_load_dwordx4 s[0:3], s[4:5], 0x0
	v_lshlrev_b32_e32 v1, 2, v0
	v_lshl_or_b32 v1, s6, 10, v1
	v_mov_b32_e32 v2, 0
	v_lshlrev_b64 v[11:12], 3, v[1:2]
	s_waitcnt lgkmcnt(0)
	v_mov_b32_e32 v1, s1
	v_add_co_u32_e32 v9, vcc, s0, v11
	v_addc_co_u32_e32 v10, vcc, v1, v12, vcc
	global_load_dwordx4 v[1:4], v[9:10], off
	global_load_dwordx4 v[5:8], v[9:10], off offset:16
	v_lshlrev_b32_e32 v13, 3, v0
	v_cmp_ne_u32_e32 vcc, 0, v0
	v_add_u32_e32 v0, -8, v13
	s_movk_i32 s4, 0x64
.LBB46_1:                               ; =>This Inner Loop Header: Depth=1
	s_waitcnt vmcnt(1)
	v_mov_b32_e32 v10, v2
	v_mov_b32_e32 v9, v1
	s_waitcnt vmcnt(0)
	ds_write2_b32 v13, v7, v8 offset1:1
	s_waitcnt lgkmcnt(0)
	s_barrier
	s_and_saveexec_b64 s[0:1], vcc
; %bb.2:                                ;   in Loop: Header=BB46_1 Depth=1
	ds_read2_b32 v[9:10], v0 offset1:1
; %bb.3:                                ;   in Loop: Header=BB46_1 Depth=1
	s_or_b64 exec, exec, s[0:1]
	s_add_i32 s4, s4, -1
	s_cmp_lg_u32 s4, 0
	s_waitcnt lgkmcnt(0)
	s_barrier
	s_cbranch_scc0 .LBB46_5
; %bb.4:                                ;   in Loop: Header=BB46_1 Depth=1
	v_mov_b32_e32 v8, v6
	v_mov_b32_e32 v7, v5
	;; [unrolled: 1-line block ×8, first 2 shown]
	s_branch .LBB46_1
.LBB46_5:
	v_mov_b32_e32 v0, s3
	v_add_co_u32_e32 v7, vcc, s2, v11
	v_addc_co_u32_e32 v8, vcc, v0, v12, vcc
	v_mov_b32_e32 v11, v1
	v_mov_b32_e32 v12, v2
	;; [unrolled: 1-line block ×6, first 2 shown]
	global_store_dwordx4 v[7:8], v[9:12], off
	global_store_dwordx4 v[7:8], v[0:3], off offset:16
	s_endpgm
	.section	.rodata,"a",@progbits
	.p2align	6, 0x0
	.amdhsa_kernel _Z6kernelI2upN15benchmark_utils11custom_typeIffEELj256ELj4ELj100EEvPKT0_PS4_
		.amdhsa_group_segment_fixed_size 2048
		.amdhsa_private_segment_fixed_size 0
		.amdhsa_kernarg_size 16
		.amdhsa_user_sgpr_count 6
		.amdhsa_user_sgpr_private_segment_buffer 1
		.amdhsa_user_sgpr_dispatch_ptr 0
		.amdhsa_user_sgpr_queue_ptr 0
		.amdhsa_user_sgpr_kernarg_segment_ptr 1
		.amdhsa_user_sgpr_dispatch_id 0
		.amdhsa_user_sgpr_flat_scratch_init 0
		.amdhsa_user_sgpr_private_segment_size 0
		.amdhsa_uses_dynamic_stack 0
		.amdhsa_system_sgpr_private_segment_wavefront_offset 0
		.amdhsa_system_sgpr_workgroup_id_x 1
		.amdhsa_system_sgpr_workgroup_id_y 0
		.amdhsa_system_sgpr_workgroup_id_z 0
		.amdhsa_system_sgpr_workgroup_info 0
		.amdhsa_system_vgpr_workitem_id 0
		.amdhsa_next_free_vgpr 14
		.amdhsa_next_free_sgpr 7
		.amdhsa_reserve_vcc 1
		.amdhsa_reserve_flat_scratch 0
		.amdhsa_float_round_mode_32 0
		.amdhsa_float_round_mode_16_64 0
		.amdhsa_float_denorm_mode_32 3
		.amdhsa_float_denorm_mode_16_64 3
		.amdhsa_dx10_clamp 1
		.amdhsa_ieee_mode 1
		.amdhsa_fp16_overflow 0
		.amdhsa_exception_fp_ieee_invalid_op 0
		.amdhsa_exception_fp_denorm_src 0
		.amdhsa_exception_fp_ieee_div_zero 0
		.amdhsa_exception_fp_ieee_overflow 0
		.amdhsa_exception_fp_ieee_underflow 0
		.amdhsa_exception_fp_ieee_inexact 0
		.amdhsa_exception_int_div_zero 0
	.end_amdhsa_kernel
	.section	.text._Z6kernelI2upN15benchmark_utils11custom_typeIffEELj256ELj4ELj100EEvPKT0_PS4_,"axG",@progbits,_Z6kernelI2upN15benchmark_utils11custom_typeIffEELj256ELj4ELj100EEvPKT0_PS4_,comdat
.Lfunc_end46:
	.size	_Z6kernelI2upN15benchmark_utils11custom_typeIffEELj256ELj4ELj100EEvPKT0_PS4_, .Lfunc_end46-_Z6kernelI2upN15benchmark_utils11custom_typeIffEELj256ELj4ELj100EEvPKT0_PS4_
                                        ; -- End function
	.set _Z6kernelI2upN15benchmark_utils11custom_typeIffEELj256ELj4ELj100EEvPKT0_PS4_.num_vgpr, 14
	.set _Z6kernelI2upN15benchmark_utils11custom_typeIffEELj256ELj4ELj100EEvPKT0_PS4_.num_agpr, 0
	.set _Z6kernelI2upN15benchmark_utils11custom_typeIffEELj256ELj4ELj100EEvPKT0_PS4_.numbered_sgpr, 7
	.set _Z6kernelI2upN15benchmark_utils11custom_typeIffEELj256ELj4ELj100EEvPKT0_PS4_.num_named_barrier, 0
	.set _Z6kernelI2upN15benchmark_utils11custom_typeIffEELj256ELj4ELj100EEvPKT0_PS4_.private_seg_size, 0
	.set _Z6kernelI2upN15benchmark_utils11custom_typeIffEELj256ELj4ELj100EEvPKT0_PS4_.uses_vcc, 1
	.set _Z6kernelI2upN15benchmark_utils11custom_typeIffEELj256ELj4ELj100EEvPKT0_PS4_.uses_flat_scratch, 0
	.set _Z6kernelI2upN15benchmark_utils11custom_typeIffEELj256ELj4ELj100EEvPKT0_PS4_.has_dyn_sized_stack, 0
	.set _Z6kernelI2upN15benchmark_utils11custom_typeIffEELj256ELj4ELj100EEvPKT0_PS4_.has_recursion, 0
	.set _Z6kernelI2upN15benchmark_utils11custom_typeIffEELj256ELj4ELj100EEvPKT0_PS4_.has_indirect_call, 0
	.section	.AMDGPU.csdata,"",@progbits
; Kernel info:
; codeLenInByte = 240
; TotalNumSgprs: 11
; NumVgprs: 14
; ScratchSize: 0
; MemoryBound: 0
; FloatMode: 240
; IeeeMode: 1
; LDSByteSize: 2048 bytes/workgroup (compile time only)
; SGPRBlocks: 1
; VGPRBlocks: 3
; NumSGPRsForWavesPerEU: 11
; NumVGPRsForWavesPerEU: 14
; Occupancy: 10
; WaveLimiterHint : 0
; COMPUTE_PGM_RSRC2:SCRATCH_EN: 0
; COMPUTE_PGM_RSRC2:USER_SGPR: 6
; COMPUTE_PGM_RSRC2:TRAP_HANDLER: 0
; COMPUTE_PGM_RSRC2:TGID_X_EN: 1
; COMPUTE_PGM_RSRC2:TGID_Y_EN: 0
; COMPUTE_PGM_RSRC2:TGID_Z_EN: 0
; COMPUTE_PGM_RSRC2:TIDIG_COMP_CNT: 0
	.section	.text._Z6kernelI2upN15benchmark_utils11custom_typeIffEELj256ELj8ELj100EEvPKT0_PS4_,"axG",@progbits,_Z6kernelI2upN15benchmark_utils11custom_typeIffEELj256ELj8ELj100EEvPKT0_PS4_,comdat
	.protected	_Z6kernelI2upN15benchmark_utils11custom_typeIffEELj256ELj8ELj100EEvPKT0_PS4_ ; -- Begin function _Z6kernelI2upN15benchmark_utils11custom_typeIffEELj256ELj8ELj100EEvPKT0_PS4_
	.globl	_Z6kernelI2upN15benchmark_utils11custom_typeIffEELj256ELj8ELj100EEvPKT0_PS4_
	.p2align	8
	.type	_Z6kernelI2upN15benchmark_utils11custom_typeIffEELj256ELj8ELj100EEvPKT0_PS4_,@function
_Z6kernelI2upN15benchmark_utils11custom_typeIffEELj256ELj8ELj100EEvPKT0_PS4_: ; @_Z6kernelI2upN15benchmark_utils11custom_typeIffEELj256ELj8ELj100EEvPKT0_PS4_
; %bb.0:
	s_load_dwordx4 s[0:3], s[4:5], 0x0
	v_lshlrev_b32_e32 v21, 3, v0
	v_lshl_or_b32 v1, s6, 11, v21
	v_mov_b32_e32 v2, 0
	v_lshlrev_b64 v[19:20], 3, v[1:2]
	s_waitcnt lgkmcnt(0)
	v_mov_b32_e32 v1, s1
	v_add_co_u32_e32 v17, vcc, s0, v19
	v_addc_co_u32_e32 v18, vcc, v1, v20, vcc
	global_load_dwordx4 v[1:4], v[17:18], off
	global_load_dwordx4 v[5:8], v[17:18], off offset:16
	global_load_dwordx4 v[9:12], v[17:18], off offset:32
	;; [unrolled: 1-line block ×3, first 2 shown]
	v_cmp_ne_u32_e32 vcc, 0, v0
	v_add_u32_e32 v0, -8, v21
	s_movk_i32 s4, 0x64
.LBB47_1:                               ; =>This Inner Loop Header: Depth=1
	s_waitcnt vmcnt(3)
	v_mov_b32_e32 v18, v2
	v_mov_b32_e32 v17, v1
	s_waitcnt vmcnt(0)
	ds_write2_b32 v21, v15, v16 offset1:1
	s_waitcnt lgkmcnt(0)
	s_barrier
	s_and_saveexec_b64 s[0:1], vcc
; %bb.2:                                ;   in Loop: Header=BB47_1 Depth=1
	ds_read2_b32 v[17:18], v0 offset1:1
; %bb.3:                                ;   in Loop: Header=BB47_1 Depth=1
	s_or_b64 exec, exec, s[0:1]
	s_add_i32 s4, s4, -1
	s_cmp_lg_u32 s4, 0
	s_waitcnt lgkmcnt(0)
	s_barrier
	s_cbranch_scc0 .LBB47_5
; %bb.4:                                ;   in Loop: Header=BB47_1 Depth=1
	v_mov_b32_e32 v16, v14
	v_mov_b32_e32 v15, v13
	;; [unrolled: 1-line block ×16, first 2 shown]
	s_branch .LBB47_1
.LBB47_5:
	v_mov_b32_e32 v0, s3
	v_add_co_u32_e32 v15, vcc, s2, v19
	v_addc_co_u32_e32 v16, vcc, v0, v20, vcc
	v_mov_b32_e32 v19, v1
	v_mov_b32_e32 v20, v2
	;; [unrolled: 1-line block ×6, first 2 shown]
	global_store_dwordx4 v[15:16], v[0:3], off offset:16
	global_store_dwordx4 v[15:16], v[17:20], off
	v_mov_b32_e32 v0, v7
	v_mov_b32_e32 v1, v8
	;; [unrolled: 1-line block ×4, first 2 shown]
	global_store_dwordx4 v[15:16], v[0:3], off offset:32
	s_nop 0
	v_mov_b32_e32 v0, v11
	v_mov_b32_e32 v1, v12
	;; [unrolled: 1-line block ×4, first 2 shown]
	global_store_dwordx4 v[15:16], v[0:3], off offset:48
	s_endpgm
	.section	.rodata,"a",@progbits
	.p2align	6, 0x0
	.amdhsa_kernel _Z6kernelI2upN15benchmark_utils11custom_typeIffEELj256ELj8ELj100EEvPKT0_PS4_
		.amdhsa_group_segment_fixed_size 2048
		.amdhsa_private_segment_fixed_size 0
		.amdhsa_kernarg_size 16
		.amdhsa_user_sgpr_count 6
		.amdhsa_user_sgpr_private_segment_buffer 1
		.amdhsa_user_sgpr_dispatch_ptr 0
		.amdhsa_user_sgpr_queue_ptr 0
		.amdhsa_user_sgpr_kernarg_segment_ptr 1
		.amdhsa_user_sgpr_dispatch_id 0
		.amdhsa_user_sgpr_flat_scratch_init 0
		.amdhsa_user_sgpr_private_segment_size 0
		.amdhsa_uses_dynamic_stack 0
		.amdhsa_system_sgpr_private_segment_wavefront_offset 0
		.amdhsa_system_sgpr_workgroup_id_x 1
		.amdhsa_system_sgpr_workgroup_id_y 0
		.amdhsa_system_sgpr_workgroup_id_z 0
		.amdhsa_system_sgpr_workgroup_info 0
		.amdhsa_system_vgpr_workitem_id 0
		.amdhsa_next_free_vgpr 22
		.amdhsa_next_free_sgpr 7
		.amdhsa_reserve_vcc 1
		.amdhsa_reserve_flat_scratch 0
		.amdhsa_float_round_mode_32 0
		.amdhsa_float_round_mode_16_64 0
		.amdhsa_float_denorm_mode_32 3
		.amdhsa_float_denorm_mode_16_64 3
		.amdhsa_dx10_clamp 1
		.amdhsa_ieee_mode 1
		.amdhsa_fp16_overflow 0
		.amdhsa_exception_fp_ieee_invalid_op 0
		.amdhsa_exception_fp_denorm_src 0
		.amdhsa_exception_fp_ieee_div_zero 0
		.amdhsa_exception_fp_ieee_overflow 0
		.amdhsa_exception_fp_ieee_underflow 0
		.amdhsa_exception_fp_ieee_inexact 0
		.amdhsa_exception_int_div_zero 0
	.end_amdhsa_kernel
	.section	.text._Z6kernelI2upN15benchmark_utils11custom_typeIffEELj256ELj8ELj100EEvPKT0_PS4_,"axG",@progbits,_Z6kernelI2upN15benchmark_utils11custom_typeIffEELj256ELj8ELj100EEvPKT0_PS4_,comdat
.Lfunc_end47:
	.size	_Z6kernelI2upN15benchmark_utils11custom_typeIffEELj256ELj8ELj100EEvPKT0_PS4_, .Lfunc_end47-_Z6kernelI2upN15benchmark_utils11custom_typeIffEELj256ELj8ELj100EEvPKT0_PS4_
                                        ; -- End function
	.set _Z6kernelI2upN15benchmark_utils11custom_typeIffEELj256ELj8ELj100EEvPKT0_PS4_.num_vgpr, 22
	.set _Z6kernelI2upN15benchmark_utils11custom_typeIffEELj256ELj8ELj100EEvPKT0_PS4_.num_agpr, 0
	.set _Z6kernelI2upN15benchmark_utils11custom_typeIffEELj256ELj8ELj100EEvPKT0_PS4_.numbered_sgpr, 7
	.set _Z6kernelI2upN15benchmark_utils11custom_typeIffEELj256ELj8ELj100EEvPKT0_PS4_.num_named_barrier, 0
	.set _Z6kernelI2upN15benchmark_utils11custom_typeIffEELj256ELj8ELj100EEvPKT0_PS4_.private_seg_size, 0
	.set _Z6kernelI2upN15benchmark_utils11custom_typeIffEELj256ELj8ELj100EEvPKT0_PS4_.uses_vcc, 1
	.set _Z6kernelI2upN15benchmark_utils11custom_typeIffEELj256ELj8ELj100EEvPKT0_PS4_.uses_flat_scratch, 0
	.set _Z6kernelI2upN15benchmark_utils11custom_typeIffEELj256ELj8ELj100EEvPKT0_PS4_.has_dyn_sized_stack, 0
	.set _Z6kernelI2upN15benchmark_utils11custom_typeIffEELj256ELj8ELj100EEvPKT0_PS4_.has_recursion, 0
	.set _Z6kernelI2upN15benchmark_utils11custom_typeIffEELj256ELj8ELj100EEvPKT0_PS4_.has_indirect_call, 0
	.section	.AMDGPU.csdata,"",@progbits
; Kernel info:
; codeLenInByte = 336
; TotalNumSgprs: 11
; NumVgprs: 22
; ScratchSize: 0
; MemoryBound: 0
; FloatMode: 240
; IeeeMode: 1
; LDSByteSize: 2048 bytes/workgroup (compile time only)
; SGPRBlocks: 1
; VGPRBlocks: 5
; NumSGPRsForWavesPerEU: 11
; NumVGPRsForWavesPerEU: 22
; Occupancy: 10
; WaveLimiterHint : 0
; COMPUTE_PGM_RSRC2:SCRATCH_EN: 0
; COMPUTE_PGM_RSRC2:USER_SGPR: 6
; COMPUTE_PGM_RSRC2:TRAP_HANDLER: 0
; COMPUTE_PGM_RSRC2:TGID_X_EN: 1
; COMPUTE_PGM_RSRC2:TGID_Y_EN: 0
; COMPUTE_PGM_RSRC2:TGID_Z_EN: 0
; COMPUTE_PGM_RSRC2:TIDIG_COMP_CNT: 0
	.section	.text._Z6kernelI2upN15benchmark_utils11custom_typeIffEELj256ELj16ELj100EEvPKT0_PS4_,"axG",@progbits,_Z6kernelI2upN15benchmark_utils11custom_typeIffEELj256ELj16ELj100EEvPKT0_PS4_,comdat
	.protected	_Z6kernelI2upN15benchmark_utils11custom_typeIffEELj256ELj16ELj100EEvPKT0_PS4_ ; -- Begin function _Z6kernelI2upN15benchmark_utils11custom_typeIffEELj256ELj16ELj100EEvPKT0_PS4_
	.globl	_Z6kernelI2upN15benchmark_utils11custom_typeIffEELj256ELj16ELj100EEvPKT0_PS4_
	.p2align	8
	.type	_Z6kernelI2upN15benchmark_utils11custom_typeIffEELj256ELj16ELj100EEvPKT0_PS4_,@function
_Z6kernelI2upN15benchmark_utils11custom_typeIffEELj256ELj16ELj100EEvPKT0_PS4_: ; @_Z6kernelI2upN15benchmark_utils11custom_typeIffEELj256ELj16ELj100EEvPKT0_PS4_
; %bb.0:
	s_load_dwordx4 s[0:3], s[4:5], 0x0
	v_lshlrev_b32_e32 v1, 4, v0
	v_lshl_or_b32 v1, s6, 12, v1
	v_mov_b32_e32 v2, 0
	v_lshlrev_b64 v[35:36], 3, v[1:2]
	s_waitcnt lgkmcnt(0)
	v_mov_b32_e32 v1, s1
	v_add_co_u32_e32 v33, vcc, s0, v35
	v_addc_co_u32_e32 v34, vcc, v1, v36, vcc
	global_load_dwordx4 v[1:4], v[33:34], off
	global_load_dwordx4 v[5:8], v[33:34], off offset:16
	global_load_dwordx4 v[29:32], v[33:34], off offset:32
	;; [unrolled: 1-line block ×7, first 2 shown]
	v_lshlrev_b32_e32 v37, 3, v0
	v_cmp_ne_u32_e32 vcc, 0, v0
	s_movk_i32 s4, 0x64
	v_add_u32_e32 v0, -8, v37
.LBB48_1:                               ; =>This Inner Loop Header: Depth=1
	s_waitcnt vmcnt(7)
	v_mov_b32_e32 v34, v2
	v_mov_b32_e32 v33, v1
	s_waitcnt vmcnt(0)
	ds_write2_b32 v37, v11, v12 offset1:1
	s_waitcnt lgkmcnt(0)
	s_barrier
	s_and_saveexec_b64 s[0:1], vcc
; %bb.2:                                ;   in Loop: Header=BB48_1 Depth=1
	ds_read2_b32 v[33:34], v0 offset1:1
; %bb.3:                                ;   in Loop: Header=BB48_1 Depth=1
	s_or_b64 exec, exec, s[0:1]
	s_add_i32 s4, s4, -1
	s_cmp_lg_u32 s4, 0
	s_waitcnt lgkmcnt(0)
	s_barrier
	s_cbranch_scc0 .LBB48_5
; %bb.4:                                ;   in Loop: Header=BB48_1 Depth=1
	v_mov_b32_e32 v12, v10
	v_mov_b32_e32 v11, v9
	;; [unrolled: 1-line block ×32, first 2 shown]
	s_branch .LBB48_1
.LBB48_5:
	v_mov_b32_e32 v0, s3
	v_add_co_u32_e32 v11, vcc, s2, v35
	v_addc_co_u32_e32 v12, vcc, v0, v36, vcc
	v_mov_b32_e32 v35, v1
	v_mov_b32_e32 v36, v2
	;; [unrolled: 1-line block ×6, first 2 shown]
	global_store_dwordx4 v[11:12], v[0:3], off offset:16
	global_store_dwordx4 v[11:12], v[33:36], off
	v_mov_b32_e32 v0, v7
	v_mov_b32_e32 v1, v8
	v_mov_b32_e32 v2, v29
	v_mov_b32_e32 v3, v30
	global_store_dwordx4 v[11:12], v[0:3], off offset:32
	s_nop 0
	v_mov_b32_e32 v0, v31
	v_mov_b32_e32 v1, v32
	v_mov_b32_e32 v2, v25
	v_mov_b32_e32 v3, v26
	global_store_dwordx4 v[11:12], v[0:3], off offset:48
	s_nop 0
	;; [unrolled: 6-line block ×5, first 2 shown]
	v_mov_b32_e32 v0, v15
	v_mov_b32_e32 v1, v16
	;; [unrolled: 1-line block ×4, first 2 shown]
	global_store_dwordx4 v[11:12], v[0:3], off offset:112
	s_endpgm
	.section	.rodata,"a",@progbits
	.p2align	6, 0x0
	.amdhsa_kernel _Z6kernelI2upN15benchmark_utils11custom_typeIffEELj256ELj16ELj100EEvPKT0_PS4_
		.amdhsa_group_segment_fixed_size 2048
		.amdhsa_private_segment_fixed_size 0
		.amdhsa_kernarg_size 16
		.amdhsa_user_sgpr_count 6
		.amdhsa_user_sgpr_private_segment_buffer 1
		.amdhsa_user_sgpr_dispatch_ptr 0
		.amdhsa_user_sgpr_queue_ptr 0
		.amdhsa_user_sgpr_kernarg_segment_ptr 1
		.amdhsa_user_sgpr_dispatch_id 0
		.amdhsa_user_sgpr_flat_scratch_init 0
		.amdhsa_user_sgpr_private_segment_size 0
		.amdhsa_uses_dynamic_stack 0
		.amdhsa_system_sgpr_private_segment_wavefront_offset 0
		.amdhsa_system_sgpr_workgroup_id_x 1
		.amdhsa_system_sgpr_workgroup_id_y 0
		.amdhsa_system_sgpr_workgroup_id_z 0
		.amdhsa_system_sgpr_workgroup_info 0
		.amdhsa_system_vgpr_workitem_id 0
		.amdhsa_next_free_vgpr 38
		.amdhsa_next_free_sgpr 7
		.amdhsa_reserve_vcc 1
		.amdhsa_reserve_flat_scratch 0
		.amdhsa_float_round_mode_32 0
		.amdhsa_float_round_mode_16_64 0
		.amdhsa_float_denorm_mode_32 3
		.amdhsa_float_denorm_mode_16_64 3
		.amdhsa_dx10_clamp 1
		.amdhsa_ieee_mode 1
		.amdhsa_fp16_overflow 0
		.amdhsa_exception_fp_ieee_invalid_op 0
		.amdhsa_exception_fp_denorm_src 0
		.amdhsa_exception_fp_ieee_div_zero 0
		.amdhsa_exception_fp_ieee_overflow 0
		.amdhsa_exception_fp_ieee_underflow 0
		.amdhsa_exception_fp_ieee_inexact 0
		.amdhsa_exception_int_div_zero 0
	.end_amdhsa_kernel
	.section	.text._Z6kernelI2upN15benchmark_utils11custom_typeIffEELj256ELj16ELj100EEvPKT0_PS4_,"axG",@progbits,_Z6kernelI2upN15benchmark_utils11custom_typeIffEELj256ELj16ELj100EEvPKT0_PS4_,comdat
.Lfunc_end48:
	.size	_Z6kernelI2upN15benchmark_utils11custom_typeIffEELj256ELj16ELj100EEvPKT0_PS4_, .Lfunc_end48-_Z6kernelI2upN15benchmark_utils11custom_typeIffEELj256ELj16ELj100EEvPKT0_PS4_
                                        ; -- End function
	.set _Z6kernelI2upN15benchmark_utils11custom_typeIffEELj256ELj16ELj100EEvPKT0_PS4_.num_vgpr, 38
	.set _Z6kernelI2upN15benchmark_utils11custom_typeIffEELj256ELj16ELj100EEvPKT0_PS4_.num_agpr, 0
	.set _Z6kernelI2upN15benchmark_utils11custom_typeIffEELj256ELj16ELj100EEvPKT0_PS4_.numbered_sgpr, 7
	.set _Z6kernelI2upN15benchmark_utils11custom_typeIffEELj256ELj16ELj100EEvPKT0_PS4_.num_named_barrier, 0
	.set _Z6kernelI2upN15benchmark_utils11custom_typeIffEELj256ELj16ELj100EEvPKT0_PS4_.private_seg_size, 0
	.set _Z6kernelI2upN15benchmark_utils11custom_typeIffEELj256ELj16ELj100EEvPKT0_PS4_.uses_vcc, 1
	.set _Z6kernelI2upN15benchmark_utils11custom_typeIffEELj256ELj16ELj100EEvPKT0_PS4_.uses_flat_scratch, 0
	.set _Z6kernelI2upN15benchmark_utils11custom_typeIffEELj256ELj16ELj100EEvPKT0_PS4_.has_dyn_sized_stack, 0
	.set _Z6kernelI2upN15benchmark_utils11custom_typeIffEELj256ELj16ELj100EEvPKT0_PS4_.has_recursion, 0
	.set _Z6kernelI2upN15benchmark_utils11custom_typeIffEELj256ELj16ELj100EEvPKT0_PS4_.has_indirect_call, 0
	.section	.AMDGPU.csdata,"",@progbits
; Kernel info:
; codeLenInByte = 548
; TotalNumSgprs: 11
; NumVgprs: 38
; ScratchSize: 0
; MemoryBound: 1
; FloatMode: 240
; IeeeMode: 1
; LDSByteSize: 2048 bytes/workgroup (compile time only)
; SGPRBlocks: 1
; VGPRBlocks: 9
; NumSGPRsForWavesPerEU: 11
; NumVGPRsForWavesPerEU: 38
; Occupancy: 6
; WaveLimiterHint : 0
; COMPUTE_PGM_RSRC2:SCRATCH_EN: 0
; COMPUTE_PGM_RSRC2:USER_SGPR: 6
; COMPUTE_PGM_RSRC2:TRAP_HANDLER: 0
; COMPUTE_PGM_RSRC2:TGID_X_EN: 1
; COMPUTE_PGM_RSRC2:TGID_Y_EN: 0
; COMPUTE_PGM_RSRC2:TGID_Z_EN: 0
; COMPUTE_PGM_RSRC2:TIDIG_COMP_CNT: 0
	.section	.text._Z6kernelI2upN15benchmark_utils11custom_typeIffEELj256ELj32ELj100EEvPKT0_PS4_,"axG",@progbits,_Z6kernelI2upN15benchmark_utils11custom_typeIffEELj256ELj32ELj100EEvPKT0_PS4_,comdat
	.protected	_Z6kernelI2upN15benchmark_utils11custom_typeIffEELj256ELj32ELj100EEvPKT0_PS4_ ; -- Begin function _Z6kernelI2upN15benchmark_utils11custom_typeIffEELj256ELj32ELj100EEvPKT0_PS4_
	.globl	_Z6kernelI2upN15benchmark_utils11custom_typeIffEELj256ELj32ELj100EEvPKT0_PS4_
	.p2align	8
	.type	_Z6kernelI2upN15benchmark_utils11custom_typeIffEELj256ELj32ELj100EEvPKT0_PS4_,@function
_Z6kernelI2upN15benchmark_utils11custom_typeIffEELj256ELj32ELj100EEvPKT0_PS4_: ; @_Z6kernelI2upN15benchmark_utils11custom_typeIffEELj256ELj32ELj100EEvPKT0_PS4_
; %bb.0:
	s_load_dwordx4 s[0:3], s[4:5], 0x0
	v_lshlrev_b32_e32 v1, 5, v0
	v_lshl_or_b32 v1, s6, 13, v1
	v_mov_b32_e32 v2, 0
	v_lshlrev_b64 v[67:68], 3, v[1:2]
	s_waitcnt lgkmcnt(0)
	v_mov_b32_e32 v1, s1
	v_add_co_u32_e32 v9, vcc, s0, v67
	v_addc_co_u32_e32 v10, vcc, v1, v68, vcc
	global_load_dwordx4 v[1:4], v[9:10], off
	global_load_dwordx4 v[5:8], v[9:10], off offset:16
	global_load_dwordx4 v[61:64], v[9:10], off offset:32
	;; [unrolled: 1-line block ×14, first 2 shown]
	s_nop 0
	global_load_dwordx4 v[9:12], v[9:10], off offset:240
	v_lshlrev_b32_e32 v69, 3, v0
	v_cmp_ne_u32_e32 vcc, 0, v0
	v_add_u32_e32 v0, -8, v69
	s_movk_i32 s4, 0x64
.LBB49_1:                               ; =>This Inner Loop Header: Depth=1
	s_waitcnt vmcnt(15)
	v_mov_b32_e32 v66, v2
	v_mov_b32_e32 v65, v1
	s_waitcnt vmcnt(0)
	ds_write2_b32 v69, v11, v12 offset1:1
	s_waitcnt lgkmcnt(0)
	s_barrier
	s_and_saveexec_b64 s[0:1], vcc
; %bb.2:                                ;   in Loop: Header=BB49_1 Depth=1
	ds_read2_b32 v[65:66], v0 offset1:1
; %bb.3:                                ;   in Loop: Header=BB49_1 Depth=1
	s_or_b64 exec, exec, s[0:1]
	s_add_i32 s4, s4, -1
	s_cmp_lg_u32 s4, 0
	s_waitcnt lgkmcnt(0)
	s_barrier
	s_cbranch_scc0 .LBB49_5
; %bb.4:                                ;   in Loop: Header=BB49_1 Depth=1
	v_mov_b32_e32 v12, v10
	v_mov_b32_e32 v11, v9
	;; [unrolled: 1-line block ×64, first 2 shown]
	s_branch .LBB49_1
.LBB49_5:
	v_mov_b32_e32 v0, s3
	v_add_co_u32_e32 v11, vcc, s2, v67
	v_addc_co_u32_e32 v12, vcc, v0, v68, vcc
	v_mov_b32_e32 v67, v1
	v_mov_b32_e32 v68, v2
	;; [unrolled: 1-line block ×6, first 2 shown]
	global_store_dwordx4 v[11:12], v[0:3], off offset:16
	global_store_dwordx4 v[11:12], v[65:68], off
	v_mov_b32_e32 v0, v7
	v_mov_b32_e32 v1, v8
	v_mov_b32_e32 v2, v61
	v_mov_b32_e32 v3, v62
	global_store_dwordx4 v[11:12], v[0:3], off offset:32
	s_nop 0
	v_mov_b32_e32 v0, v63
	v_mov_b32_e32 v1, v64
	v_mov_b32_e32 v2, v57
	v_mov_b32_e32 v3, v58
	global_store_dwordx4 v[11:12], v[0:3], off offset:48
	s_nop 0
	;; [unrolled: 6-line block ×13, first 2 shown]
	v_mov_b32_e32 v0, v15
	v_mov_b32_e32 v1, v16
	;; [unrolled: 1-line block ×4, first 2 shown]
	global_store_dwordx4 v[11:12], v[0:3], off offset:240
	s_endpgm
	.section	.rodata,"a",@progbits
	.p2align	6, 0x0
	.amdhsa_kernel _Z6kernelI2upN15benchmark_utils11custom_typeIffEELj256ELj32ELj100EEvPKT0_PS4_
		.amdhsa_group_segment_fixed_size 2048
		.amdhsa_private_segment_fixed_size 0
		.amdhsa_kernarg_size 16
		.amdhsa_user_sgpr_count 6
		.amdhsa_user_sgpr_private_segment_buffer 1
		.amdhsa_user_sgpr_dispatch_ptr 0
		.amdhsa_user_sgpr_queue_ptr 0
		.amdhsa_user_sgpr_kernarg_segment_ptr 1
		.amdhsa_user_sgpr_dispatch_id 0
		.amdhsa_user_sgpr_flat_scratch_init 0
		.amdhsa_user_sgpr_private_segment_size 0
		.amdhsa_uses_dynamic_stack 0
		.amdhsa_system_sgpr_private_segment_wavefront_offset 0
		.amdhsa_system_sgpr_workgroup_id_x 1
		.amdhsa_system_sgpr_workgroup_id_y 0
		.amdhsa_system_sgpr_workgroup_id_z 0
		.amdhsa_system_sgpr_workgroup_info 0
		.amdhsa_system_vgpr_workitem_id 0
		.amdhsa_next_free_vgpr 70
		.amdhsa_next_free_sgpr 7
		.amdhsa_reserve_vcc 1
		.amdhsa_reserve_flat_scratch 0
		.amdhsa_float_round_mode_32 0
		.amdhsa_float_round_mode_16_64 0
		.amdhsa_float_denorm_mode_32 3
		.amdhsa_float_denorm_mode_16_64 3
		.amdhsa_dx10_clamp 1
		.amdhsa_ieee_mode 1
		.amdhsa_fp16_overflow 0
		.amdhsa_exception_fp_ieee_invalid_op 0
		.amdhsa_exception_fp_denorm_src 0
		.amdhsa_exception_fp_ieee_div_zero 0
		.amdhsa_exception_fp_ieee_overflow 0
		.amdhsa_exception_fp_ieee_underflow 0
		.amdhsa_exception_fp_ieee_inexact 0
		.amdhsa_exception_int_div_zero 0
	.end_amdhsa_kernel
	.section	.text._Z6kernelI2upN15benchmark_utils11custom_typeIffEELj256ELj32ELj100EEvPKT0_PS4_,"axG",@progbits,_Z6kernelI2upN15benchmark_utils11custom_typeIffEELj256ELj32ELj100EEvPKT0_PS4_,comdat
.Lfunc_end49:
	.size	_Z6kernelI2upN15benchmark_utils11custom_typeIffEELj256ELj32ELj100EEvPKT0_PS4_, .Lfunc_end49-_Z6kernelI2upN15benchmark_utils11custom_typeIffEELj256ELj32ELj100EEvPKT0_PS4_
                                        ; -- End function
	.set _Z6kernelI2upN15benchmark_utils11custom_typeIffEELj256ELj32ELj100EEvPKT0_PS4_.num_vgpr, 70
	.set _Z6kernelI2upN15benchmark_utils11custom_typeIffEELj256ELj32ELj100EEvPKT0_PS4_.num_agpr, 0
	.set _Z6kernelI2upN15benchmark_utils11custom_typeIffEELj256ELj32ELj100EEvPKT0_PS4_.numbered_sgpr, 7
	.set _Z6kernelI2upN15benchmark_utils11custom_typeIffEELj256ELj32ELj100EEvPKT0_PS4_.num_named_barrier, 0
	.set _Z6kernelI2upN15benchmark_utils11custom_typeIffEELj256ELj32ELj100EEvPKT0_PS4_.private_seg_size, 0
	.set _Z6kernelI2upN15benchmark_utils11custom_typeIffEELj256ELj32ELj100EEvPKT0_PS4_.uses_vcc, 1
	.set _Z6kernelI2upN15benchmark_utils11custom_typeIffEELj256ELj32ELj100EEvPKT0_PS4_.uses_flat_scratch, 0
	.set _Z6kernelI2upN15benchmark_utils11custom_typeIffEELj256ELj32ELj100EEvPKT0_PS4_.has_dyn_sized_stack, 0
	.set _Z6kernelI2upN15benchmark_utils11custom_typeIffEELj256ELj32ELj100EEvPKT0_PS4_.has_recursion, 0
	.set _Z6kernelI2upN15benchmark_utils11custom_typeIffEELj256ELj32ELj100EEvPKT0_PS4_.has_indirect_call, 0
	.section	.AMDGPU.csdata,"",@progbits
; Kernel info:
; codeLenInByte = 968
; TotalNumSgprs: 11
; NumVgprs: 70
; ScratchSize: 0
; MemoryBound: 1
; FloatMode: 240
; IeeeMode: 1
; LDSByteSize: 2048 bytes/workgroup (compile time only)
; SGPRBlocks: 1
; VGPRBlocks: 17
; NumSGPRsForWavesPerEU: 11
; NumVGPRsForWavesPerEU: 70
; Occupancy: 3
; WaveLimiterHint : 0
; COMPUTE_PGM_RSRC2:SCRATCH_EN: 0
; COMPUTE_PGM_RSRC2:USER_SGPR: 6
; COMPUTE_PGM_RSRC2:TRAP_HANDLER: 0
; COMPUTE_PGM_RSRC2:TGID_X_EN: 1
; COMPUTE_PGM_RSRC2:TGID_Y_EN: 0
; COMPUTE_PGM_RSRC2:TGID_Z_EN: 0
; COMPUTE_PGM_RSRC2:TIDIG_COMP_CNT: 0
	.section	.text._Z6kernelI2upN15benchmark_utils11custom_typeIddEELj256ELj1ELj100EEvPKT0_PS4_,"axG",@progbits,_Z6kernelI2upN15benchmark_utils11custom_typeIddEELj256ELj1ELj100EEvPKT0_PS4_,comdat
	.protected	_Z6kernelI2upN15benchmark_utils11custom_typeIddEELj256ELj1ELj100EEvPKT0_PS4_ ; -- Begin function _Z6kernelI2upN15benchmark_utils11custom_typeIddEELj256ELj1ELj100EEvPKT0_PS4_
	.globl	_Z6kernelI2upN15benchmark_utils11custom_typeIddEELj256ELj1ELj100EEvPKT0_PS4_
	.p2align	8
	.type	_Z6kernelI2upN15benchmark_utils11custom_typeIddEELj256ELj1ELj100EEvPKT0_PS4_,@function
_Z6kernelI2upN15benchmark_utils11custom_typeIddEELj256ELj1ELj100EEvPKT0_PS4_: ; @_Z6kernelI2upN15benchmark_utils11custom_typeIddEELj256ELj1ELj100EEvPKT0_PS4_
; %bb.0:
	s_load_dwordx4 s[0:3], s[4:5], 0x0
	v_lshl_or_b32 v1, s6, 8, v0
	v_mov_b32_e32 v2, 0
	v_lshlrev_b64 v[5:6], 4, v[1:2]
	v_lshlrev_b32_e32 v7, 4, v0
	s_waitcnt lgkmcnt(0)
	v_mov_b32_e32 v2, s1
	v_add_co_u32_e32 v1, vcc, s0, v5
	v_addc_co_u32_e32 v2, vcc, v2, v6, vcc
	global_load_dwordx4 v[1:4], v[1:2], off
	v_cmp_ne_u32_e32 vcc, 0, v0
	v_add_u32_e32 v0, -16, v7
	s_movk_i32 s4, 0x64
	s_branch .LBB50_2
.LBB50_1:                               ;   in Loop: Header=BB50_2 Depth=1
	s_or_b64 exec, exec, s[0:1]
	s_add_i32 s4, s4, -1
	s_cmp_lg_u32 s4, 0
	s_waitcnt lgkmcnt(0)
	s_barrier
	s_cbranch_scc0 .LBB50_4
.LBB50_2:                               ; =>This Inner Loop Header: Depth=1
	s_waitcnt vmcnt(0)
	ds_write2_b64 v7, v[1:2], v[3:4] offset1:1
	s_waitcnt lgkmcnt(0)
	s_barrier
	s_and_saveexec_b64 s[0:1], vcc
	s_cbranch_execz .LBB50_1
; %bb.3:                                ;   in Loop: Header=BB50_2 Depth=1
	ds_read2_b64 v[1:4], v0 offset1:1
	s_branch .LBB50_1
.LBB50_4:
	v_mov_b32_e32 v0, s3
	v_add_co_u32_e32 v5, vcc, s2, v5
	v_addc_co_u32_e32 v6, vcc, v0, v6, vcc
	global_store_dwordx4 v[5:6], v[1:4], off
	s_endpgm
	.section	.rodata,"a",@progbits
	.p2align	6, 0x0
	.amdhsa_kernel _Z6kernelI2upN15benchmark_utils11custom_typeIddEELj256ELj1ELj100EEvPKT0_PS4_
		.amdhsa_group_segment_fixed_size 4096
		.amdhsa_private_segment_fixed_size 0
		.amdhsa_kernarg_size 16
		.amdhsa_user_sgpr_count 6
		.amdhsa_user_sgpr_private_segment_buffer 1
		.amdhsa_user_sgpr_dispatch_ptr 0
		.amdhsa_user_sgpr_queue_ptr 0
		.amdhsa_user_sgpr_kernarg_segment_ptr 1
		.amdhsa_user_sgpr_dispatch_id 0
		.amdhsa_user_sgpr_flat_scratch_init 0
		.amdhsa_user_sgpr_private_segment_size 0
		.amdhsa_uses_dynamic_stack 0
		.amdhsa_system_sgpr_private_segment_wavefront_offset 0
		.amdhsa_system_sgpr_workgroup_id_x 1
		.amdhsa_system_sgpr_workgroup_id_y 0
		.amdhsa_system_sgpr_workgroup_id_z 0
		.amdhsa_system_sgpr_workgroup_info 0
		.amdhsa_system_vgpr_workitem_id 0
		.amdhsa_next_free_vgpr 8
		.amdhsa_next_free_sgpr 7
		.amdhsa_reserve_vcc 1
		.amdhsa_reserve_flat_scratch 0
		.amdhsa_float_round_mode_32 0
		.amdhsa_float_round_mode_16_64 0
		.amdhsa_float_denorm_mode_32 3
		.amdhsa_float_denorm_mode_16_64 3
		.amdhsa_dx10_clamp 1
		.amdhsa_ieee_mode 1
		.amdhsa_fp16_overflow 0
		.amdhsa_exception_fp_ieee_invalid_op 0
		.amdhsa_exception_fp_denorm_src 0
		.amdhsa_exception_fp_ieee_div_zero 0
		.amdhsa_exception_fp_ieee_overflow 0
		.amdhsa_exception_fp_ieee_underflow 0
		.amdhsa_exception_fp_ieee_inexact 0
		.amdhsa_exception_int_div_zero 0
	.end_amdhsa_kernel
	.section	.text._Z6kernelI2upN15benchmark_utils11custom_typeIddEELj256ELj1ELj100EEvPKT0_PS4_,"axG",@progbits,_Z6kernelI2upN15benchmark_utils11custom_typeIddEELj256ELj1ELj100EEvPKT0_PS4_,comdat
.Lfunc_end50:
	.size	_Z6kernelI2upN15benchmark_utils11custom_typeIddEELj256ELj1ELj100EEvPKT0_PS4_, .Lfunc_end50-_Z6kernelI2upN15benchmark_utils11custom_typeIddEELj256ELj1ELj100EEvPKT0_PS4_
                                        ; -- End function
	.set _Z6kernelI2upN15benchmark_utils11custom_typeIddEELj256ELj1ELj100EEvPKT0_PS4_.num_vgpr, 8
	.set _Z6kernelI2upN15benchmark_utils11custom_typeIddEELj256ELj1ELj100EEvPKT0_PS4_.num_agpr, 0
	.set _Z6kernelI2upN15benchmark_utils11custom_typeIddEELj256ELj1ELj100EEvPKT0_PS4_.numbered_sgpr, 7
	.set _Z6kernelI2upN15benchmark_utils11custom_typeIddEELj256ELj1ELj100EEvPKT0_PS4_.num_named_barrier, 0
	.set _Z6kernelI2upN15benchmark_utils11custom_typeIddEELj256ELj1ELj100EEvPKT0_PS4_.private_seg_size, 0
	.set _Z6kernelI2upN15benchmark_utils11custom_typeIddEELj256ELj1ELj100EEvPKT0_PS4_.uses_vcc, 1
	.set _Z6kernelI2upN15benchmark_utils11custom_typeIddEELj256ELj1ELj100EEvPKT0_PS4_.uses_flat_scratch, 0
	.set _Z6kernelI2upN15benchmark_utils11custom_typeIddEELj256ELj1ELj100EEvPKT0_PS4_.has_dyn_sized_stack, 0
	.set _Z6kernelI2upN15benchmark_utils11custom_typeIddEELj256ELj1ELj100EEvPKT0_PS4_.has_recursion, 0
	.set _Z6kernelI2upN15benchmark_utils11custom_typeIddEELj256ELj1ELj100EEvPKT0_PS4_.has_indirect_call, 0
	.section	.AMDGPU.csdata,"",@progbits
; Kernel info:
; codeLenInByte = 160
; TotalNumSgprs: 11
; NumVgprs: 8
; ScratchSize: 0
; MemoryBound: 0
; FloatMode: 240
; IeeeMode: 1
; LDSByteSize: 4096 bytes/workgroup (compile time only)
; SGPRBlocks: 1
; VGPRBlocks: 1
; NumSGPRsForWavesPerEU: 11
; NumVGPRsForWavesPerEU: 8
; Occupancy: 10
; WaveLimiterHint : 0
; COMPUTE_PGM_RSRC2:SCRATCH_EN: 0
; COMPUTE_PGM_RSRC2:USER_SGPR: 6
; COMPUTE_PGM_RSRC2:TRAP_HANDLER: 0
; COMPUTE_PGM_RSRC2:TGID_X_EN: 1
; COMPUTE_PGM_RSRC2:TGID_Y_EN: 0
; COMPUTE_PGM_RSRC2:TGID_Z_EN: 0
; COMPUTE_PGM_RSRC2:TIDIG_COMP_CNT: 0
	.section	.text._Z6kernelI2upN15benchmark_utils11custom_typeIddEELj256ELj3ELj100EEvPKT0_PS4_,"axG",@progbits,_Z6kernelI2upN15benchmark_utils11custom_typeIddEELj256ELj3ELj100EEvPKT0_PS4_,comdat
	.protected	_Z6kernelI2upN15benchmark_utils11custom_typeIddEELj256ELj3ELj100EEvPKT0_PS4_ ; -- Begin function _Z6kernelI2upN15benchmark_utils11custom_typeIddEELj256ELj3ELj100EEvPKT0_PS4_
	.globl	_Z6kernelI2upN15benchmark_utils11custom_typeIddEELj256ELj3ELj100EEvPKT0_PS4_
	.p2align	8
	.type	_Z6kernelI2upN15benchmark_utils11custom_typeIddEELj256ELj3ELj100EEvPKT0_PS4_,@function
_Z6kernelI2upN15benchmark_utils11custom_typeIddEELj256ELj3ELj100EEvPKT0_PS4_: ; @_Z6kernelI2upN15benchmark_utils11custom_typeIddEELj256ELj3ELj100EEvPKT0_PS4_
; %bb.0:
	s_load_dwordx4 s[0:3], s[4:5], 0x0
	v_lshl_or_b32 v1, s6, 8, v0
	v_lshl_add_u32 v9, v1, 1, v1
	v_mov_b32_e32 v10, 0
	v_lshlrev_b64 v[17:18], 4, v[9:10]
	s_waitcnt lgkmcnt(0)
	v_mov_b32_e32 v1, s1
	v_add_co_u32_e32 v11, vcc, s0, v17
	v_addc_co_u32_e32 v12, vcc, v1, v18, vcc
	v_add_u32_e32 v1, 1, v9
	v_mov_b32_e32 v2, v10
	v_lshlrev_b64 v[19:20], 4, v[1:2]
	v_add_u32_e32 v9, 2, v9
	v_mov_b32_e32 v1, s1
	v_add_co_u32_e32 v13, vcc, s0, v19
	v_lshlrev_b64 v[21:22], 4, v[9:10]
	v_addc_co_u32_e32 v14, vcc, v1, v20, vcc
	v_mov_b32_e32 v10, s1
	v_add_co_u32_e32 v9, vcc, s0, v21
	v_addc_co_u32_e32 v10, vcc, v10, v22, vcc
	global_load_dwordx4 v[5:8], v[11:12], off
	global_load_dwordx4 v[1:4], v[13:14], off
	v_lshlrev_b32_e32 v23, 4, v0
	global_load_dwordx4 v[13:16], v[9:10], off
	v_cmp_ne_u32_e32 vcc, 0, v0
	v_add_u32_e32 v0, -16, v23
	s_movk_i32 s4, 0x64
.LBB51_1:                               ; =>This Inner Loop Header: Depth=1
	s_waitcnt vmcnt(2)
	v_mov_b32_e32 v12, v8
	v_mov_b32_e32 v10, v6
	;; [unrolled: 1-line block ×4, first 2 shown]
	s_waitcnt vmcnt(0)
	ds_write2_b64 v23, v[13:14], v[15:16] offset1:1
	s_waitcnt lgkmcnt(0)
	s_barrier
	s_and_saveexec_b64 s[0:1], vcc
; %bb.2:                                ;   in Loop: Header=BB51_1 Depth=1
	ds_read2_b64 v[9:12], v0 offset1:1
; %bb.3:                                ;   in Loop: Header=BB51_1 Depth=1
	s_or_b64 exec, exec, s[0:1]
	s_add_i32 s4, s4, -1
	s_cmp_lg_u32 s4, 0
	s_waitcnt lgkmcnt(0)
	s_barrier
	s_cbranch_scc0 .LBB51_5
; %bb.4:                                ;   in Loop: Header=BB51_1 Depth=1
	v_mov_b32_e32 v16, v4
	v_mov_b32_e32 v14, v2
	;; [unrolled: 1-line block ×12, first 2 shown]
	s_branch .LBB51_1
.LBB51_5:
	v_mov_b32_e32 v0, s3
	v_add_co_u32_e32 v13, vcc, s2, v17
	v_addc_co_u32_e32 v14, vcc, v0, v18, vcc
	global_store_dwordx4 v[13:14], v[9:12], off
	s_nop 0
	v_add_co_u32_e32 v9, vcc, s2, v19
	v_addc_co_u32_e32 v10, vcc, v0, v20, vcc
	global_store_dwordx4 v[9:10], v[5:8], off
	s_nop 0
	v_add_co_u32_e32 v5, vcc, s2, v21
	v_addc_co_u32_e32 v6, vcc, v0, v22, vcc
	global_store_dwordx4 v[5:6], v[1:4], off
	s_endpgm
	.section	.rodata,"a",@progbits
	.p2align	6, 0x0
	.amdhsa_kernel _Z6kernelI2upN15benchmark_utils11custom_typeIddEELj256ELj3ELj100EEvPKT0_PS4_
		.amdhsa_group_segment_fixed_size 4096
		.amdhsa_private_segment_fixed_size 0
		.amdhsa_kernarg_size 16
		.amdhsa_user_sgpr_count 6
		.amdhsa_user_sgpr_private_segment_buffer 1
		.amdhsa_user_sgpr_dispatch_ptr 0
		.amdhsa_user_sgpr_queue_ptr 0
		.amdhsa_user_sgpr_kernarg_segment_ptr 1
		.amdhsa_user_sgpr_dispatch_id 0
		.amdhsa_user_sgpr_flat_scratch_init 0
		.amdhsa_user_sgpr_private_segment_size 0
		.amdhsa_uses_dynamic_stack 0
		.amdhsa_system_sgpr_private_segment_wavefront_offset 0
		.amdhsa_system_sgpr_workgroup_id_x 1
		.amdhsa_system_sgpr_workgroup_id_y 0
		.amdhsa_system_sgpr_workgroup_id_z 0
		.amdhsa_system_sgpr_workgroup_info 0
		.amdhsa_system_vgpr_workitem_id 0
		.amdhsa_next_free_vgpr 24
		.amdhsa_next_free_sgpr 7
		.amdhsa_reserve_vcc 1
		.amdhsa_reserve_flat_scratch 0
		.amdhsa_float_round_mode_32 0
		.amdhsa_float_round_mode_16_64 0
		.amdhsa_float_denorm_mode_32 3
		.amdhsa_float_denorm_mode_16_64 3
		.amdhsa_dx10_clamp 1
		.amdhsa_ieee_mode 1
		.amdhsa_fp16_overflow 0
		.amdhsa_exception_fp_ieee_invalid_op 0
		.amdhsa_exception_fp_denorm_src 0
		.amdhsa_exception_fp_ieee_div_zero 0
		.amdhsa_exception_fp_ieee_overflow 0
		.amdhsa_exception_fp_ieee_underflow 0
		.amdhsa_exception_fp_ieee_inexact 0
		.amdhsa_exception_int_div_zero 0
	.end_amdhsa_kernel
	.section	.text._Z6kernelI2upN15benchmark_utils11custom_typeIddEELj256ELj3ELj100EEvPKT0_PS4_,"axG",@progbits,_Z6kernelI2upN15benchmark_utils11custom_typeIddEELj256ELj3ELj100EEvPKT0_PS4_,comdat
.Lfunc_end51:
	.size	_Z6kernelI2upN15benchmark_utils11custom_typeIddEELj256ELj3ELj100EEvPKT0_PS4_, .Lfunc_end51-_Z6kernelI2upN15benchmark_utils11custom_typeIddEELj256ELj3ELj100EEvPKT0_PS4_
                                        ; -- End function
	.set _Z6kernelI2upN15benchmark_utils11custom_typeIddEELj256ELj3ELj100EEvPKT0_PS4_.num_vgpr, 24
	.set _Z6kernelI2upN15benchmark_utils11custom_typeIddEELj256ELj3ELj100EEvPKT0_PS4_.num_agpr, 0
	.set _Z6kernelI2upN15benchmark_utils11custom_typeIddEELj256ELj3ELj100EEvPKT0_PS4_.numbered_sgpr, 7
	.set _Z6kernelI2upN15benchmark_utils11custom_typeIddEELj256ELj3ELj100EEvPKT0_PS4_.num_named_barrier, 0
	.set _Z6kernelI2upN15benchmark_utils11custom_typeIddEELj256ELj3ELj100EEvPKT0_PS4_.private_seg_size, 0
	.set _Z6kernelI2upN15benchmark_utils11custom_typeIddEELj256ELj3ELj100EEvPKT0_PS4_.uses_vcc, 1
	.set _Z6kernelI2upN15benchmark_utils11custom_typeIddEELj256ELj3ELj100EEvPKT0_PS4_.uses_flat_scratch, 0
	.set _Z6kernelI2upN15benchmark_utils11custom_typeIddEELj256ELj3ELj100EEvPKT0_PS4_.has_dyn_sized_stack, 0
	.set _Z6kernelI2upN15benchmark_utils11custom_typeIddEELj256ELj3ELj100EEvPKT0_PS4_.has_recursion, 0
	.set _Z6kernelI2upN15benchmark_utils11custom_typeIddEELj256ELj3ELj100EEvPKT0_PS4_.has_indirect_call, 0
	.section	.AMDGPU.csdata,"",@progbits
; Kernel info:
; codeLenInByte = 336
; TotalNumSgprs: 11
; NumVgprs: 24
; ScratchSize: 0
; MemoryBound: 0
; FloatMode: 240
; IeeeMode: 1
; LDSByteSize: 4096 bytes/workgroup (compile time only)
; SGPRBlocks: 1
; VGPRBlocks: 5
; NumSGPRsForWavesPerEU: 11
; NumVGPRsForWavesPerEU: 24
; Occupancy: 10
; WaveLimiterHint : 0
; COMPUTE_PGM_RSRC2:SCRATCH_EN: 0
; COMPUTE_PGM_RSRC2:USER_SGPR: 6
; COMPUTE_PGM_RSRC2:TRAP_HANDLER: 0
; COMPUTE_PGM_RSRC2:TGID_X_EN: 1
; COMPUTE_PGM_RSRC2:TGID_Y_EN: 0
; COMPUTE_PGM_RSRC2:TGID_Z_EN: 0
; COMPUTE_PGM_RSRC2:TIDIG_COMP_CNT: 0
	.section	.text._Z6kernelI2upN15benchmark_utils11custom_typeIddEELj256ELj4ELj100EEvPKT0_PS4_,"axG",@progbits,_Z6kernelI2upN15benchmark_utils11custom_typeIddEELj256ELj4ELj100EEvPKT0_PS4_,comdat
	.protected	_Z6kernelI2upN15benchmark_utils11custom_typeIddEELj256ELj4ELj100EEvPKT0_PS4_ ; -- Begin function _Z6kernelI2upN15benchmark_utils11custom_typeIddEELj256ELj4ELj100EEvPKT0_PS4_
	.globl	_Z6kernelI2upN15benchmark_utils11custom_typeIddEELj256ELj4ELj100EEvPKT0_PS4_
	.p2align	8
	.type	_Z6kernelI2upN15benchmark_utils11custom_typeIddEELj256ELj4ELj100EEvPKT0_PS4_,@function
_Z6kernelI2upN15benchmark_utils11custom_typeIddEELj256ELj4ELj100EEvPKT0_PS4_: ; @_Z6kernelI2upN15benchmark_utils11custom_typeIddEELj256ELj4ELj100EEvPKT0_PS4_
; %bb.0:
	s_load_dwordx4 s[0:3], s[4:5], 0x0
	v_lshlrev_b32_e32 v1, 2, v0
	v_lshl_or_b32 v1, s6, 10, v1
	v_mov_b32_e32 v2, 0
	v_lshlrev_b64 v[21:22], 4, v[1:2]
	s_waitcnt lgkmcnt(0)
	v_mov_b32_e32 v1, s1
	v_add_co_u32_e32 v17, vcc, s0, v21
	v_addc_co_u32_e32 v18, vcc, v1, v22, vcc
	global_load_dwordx4 v[13:16], v[17:18], off offset:48
	global_load_dwordx4 v[1:4], v[17:18], off offset:32
	;; [unrolled: 1-line block ×3, first 2 shown]
	global_load_dwordx4 v[9:12], v[17:18], off
	v_lshlrev_b32_e32 v23, 4, v0
	v_cmp_ne_u32_e32 vcc, 0, v0
	v_add_u32_e32 v0, -16, v23
	s_movk_i32 s4, 0x64
.LBB52_1:                               ; =>This Inner Loop Header: Depth=1
	s_waitcnt vmcnt(0)
	v_mov_b32_e32 v20, v12
	v_mov_b32_e32 v18, v10
	;; [unrolled: 1-line block ×4, first 2 shown]
	ds_write2_b64 v23, v[13:14], v[15:16] offset1:1
	s_waitcnt lgkmcnt(0)
	s_barrier
	s_and_saveexec_b64 s[0:1], vcc
; %bb.2:                                ;   in Loop: Header=BB52_1 Depth=1
	ds_read2_b64 v[17:20], v0 offset1:1
; %bb.3:                                ;   in Loop: Header=BB52_1 Depth=1
	s_or_b64 exec, exec, s[0:1]
	s_add_i32 s4, s4, -1
	s_cmp_lg_u32 s4, 0
	s_waitcnt lgkmcnt(0)
	s_barrier
	s_cbranch_scc0 .LBB52_5
; %bb.4:                                ;   in Loop: Header=BB52_1 Depth=1
	v_mov_b32_e32 v16, v4
	v_mov_b32_e32 v14, v2
	;; [unrolled: 1-line block ×16, first 2 shown]
	s_branch .LBB52_1
.LBB52_5:
	v_mov_b32_e32 v0, s3
	v_add_co_u32_e32 v13, vcc, s2, v21
	v_addc_co_u32_e32 v14, vcc, v0, v22, vcc
	global_store_dwordx4 v[13:14], v[17:20], off
	global_store_dwordx4 v[13:14], v[9:12], off offset:16
	global_store_dwordx4 v[13:14], v[5:8], off offset:32
	global_store_dwordx4 v[13:14], v[1:4], off offset:48
	s_endpgm
	.section	.rodata,"a",@progbits
	.p2align	6, 0x0
	.amdhsa_kernel _Z6kernelI2upN15benchmark_utils11custom_typeIddEELj256ELj4ELj100EEvPKT0_PS4_
		.amdhsa_group_segment_fixed_size 4096
		.amdhsa_private_segment_fixed_size 0
		.amdhsa_kernarg_size 16
		.amdhsa_user_sgpr_count 6
		.amdhsa_user_sgpr_private_segment_buffer 1
		.amdhsa_user_sgpr_dispatch_ptr 0
		.amdhsa_user_sgpr_queue_ptr 0
		.amdhsa_user_sgpr_kernarg_segment_ptr 1
		.amdhsa_user_sgpr_dispatch_id 0
		.amdhsa_user_sgpr_flat_scratch_init 0
		.amdhsa_user_sgpr_private_segment_size 0
		.amdhsa_uses_dynamic_stack 0
		.amdhsa_system_sgpr_private_segment_wavefront_offset 0
		.amdhsa_system_sgpr_workgroup_id_x 1
		.amdhsa_system_sgpr_workgroup_id_y 0
		.amdhsa_system_sgpr_workgroup_id_z 0
		.amdhsa_system_sgpr_workgroup_info 0
		.amdhsa_system_vgpr_workitem_id 0
		.amdhsa_next_free_vgpr 24
		.amdhsa_next_free_sgpr 7
		.amdhsa_reserve_vcc 1
		.amdhsa_reserve_flat_scratch 0
		.amdhsa_float_round_mode_32 0
		.amdhsa_float_round_mode_16_64 0
		.amdhsa_float_denorm_mode_32 3
		.amdhsa_float_denorm_mode_16_64 3
		.amdhsa_dx10_clamp 1
		.amdhsa_ieee_mode 1
		.amdhsa_fp16_overflow 0
		.amdhsa_exception_fp_ieee_invalid_op 0
		.amdhsa_exception_fp_denorm_src 0
		.amdhsa_exception_fp_ieee_div_zero 0
		.amdhsa_exception_fp_ieee_overflow 0
		.amdhsa_exception_fp_ieee_underflow 0
		.amdhsa_exception_fp_ieee_inexact 0
		.amdhsa_exception_int_div_zero 0
	.end_amdhsa_kernel
	.section	.text._Z6kernelI2upN15benchmark_utils11custom_typeIddEELj256ELj4ELj100EEvPKT0_PS4_,"axG",@progbits,_Z6kernelI2upN15benchmark_utils11custom_typeIddEELj256ELj4ELj100EEvPKT0_PS4_,comdat
.Lfunc_end52:
	.size	_Z6kernelI2upN15benchmark_utils11custom_typeIddEELj256ELj4ELj100EEvPKT0_PS4_, .Lfunc_end52-_Z6kernelI2upN15benchmark_utils11custom_typeIddEELj256ELj4ELj100EEvPKT0_PS4_
                                        ; -- End function
	.set _Z6kernelI2upN15benchmark_utils11custom_typeIddEELj256ELj4ELj100EEvPKT0_PS4_.num_vgpr, 24
	.set _Z6kernelI2upN15benchmark_utils11custom_typeIddEELj256ELj4ELj100EEvPKT0_PS4_.num_agpr, 0
	.set _Z6kernelI2upN15benchmark_utils11custom_typeIddEELj256ELj4ELj100EEvPKT0_PS4_.numbered_sgpr, 7
	.set _Z6kernelI2upN15benchmark_utils11custom_typeIddEELj256ELj4ELj100EEvPKT0_PS4_.num_named_barrier, 0
	.set _Z6kernelI2upN15benchmark_utils11custom_typeIddEELj256ELj4ELj100EEvPKT0_PS4_.private_seg_size, 0
	.set _Z6kernelI2upN15benchmark_utils11custom_typeIddEELj256ELj4ELj100EEvPKT0_PS4_.uses_vcc, 1
	.set _Z6kernelI2upN15benchmark_utils11custom_typeIddEELj256ELj4ELj100EEvPKT0_PS4_.uses_flat_scratch, 0
	.set _Z6kernelI2upN15benchmark_utils11custom_typeIddEELj256ELj4ELj100EEvPKT0_PS4_.has_dyn_sized_stack, 0
	.set _Z6kernelI2upN15benchmark_utils11custom_typeIddEELj256ELj4ELj100EEvPKT0_PS4_.has_recursion, 0
	.set _Z6kernelI2upN15benchmark_utils11custom_typeIddEELj256ELj4ELj100EEvPKT0_PS4_.has_indirect_call, 0
	.section	.AMDGPU.csdata,"",@progbits
; Kernel info:
; codeLenInByte = 284
; TotalNumSgprs: 11
; NumVgprs: 24
; ScratchSize: 0
; MemoryBound: 1
; FloatMode: 240
; IeeeMode: 1
; LDSByteSize: 4096 bytes/workgroup (compile time only)
; SGPRBlocks: 1
; VGPRBlocks: 5
; NumSGPRsForWavesPerEU: 11
; NumVGPRsForWavesPerEU: 24
; Occupancy: 10
; WaveLimiterHint : 0
; COMPUTE_PGM_RSRC2:SCRATCH_EN: 0
; COMPUTE_PGM_RSRC2:USER_SGPR: 6
; COMPUTE_PGM_RSRC2:TRAP_HANDLER: 0
; COMPUTE_PGM_RSRC2:TGID_X_EN: 1
; COMPUTE_PGM_RSRC2:TGID_Y_EN: 0
; COMPUTE_PGM_RSRC2:TGID_Z_EN: 0
; COMPUTE_PGM_RSRC2:TIDIG_COMP_CNT: 0
	.section	.text._Z6kernelI2upN15benchmark_utils11custom_typeIddEELj256ELj8ELj100EEvPKT0_PS4_,"axG",@progbits,_Z6kernelI2upN15benchmark_utils11custom_typeIddEELj256ELj8ELj100EEvPKT0_PS4_,comdat
	.protected	_Z6kernelI2upN15benchmark_utils11custom_typeIddEELj256ELj8ELj100EEvPKT0_PS4_ ; -- Begin function _Z6kernelI2upN15benchmark_utils11custom_typeIddEELj256ELj8ELj100EEvPKT0_PS4_
	.globl	_Z6kernelI2upN15benchmark_utils11custom_typeIddEELj256ELj8ELj100EEvPKT0_PS4_
	.p2align	8
	.type	_Z6kernelI2upN15benchmark_utils11custom_typeIddEELj256ELj8ELj100EEvPKT0_PS4_,@function
_Z6kernelI2upN15benchmark_utils11custom_typeIddEELj256ELj8ELj100EEvPKT0_PS4_: ; @_Z6kernelI2upN15benchmark_utils11custom_typeIddEELj256ELj8ELj100EEvPKT0_PS4_
; %bb.0:
	s_load_dwordx4 s[0:3], s[4:5], 0x0
	v_lshlrev_b32_e32 v1, 3, v0
	v_lshl_or_b32 v1, s6, 11, v1
	v_mov_b32_e32 v2, 0
	v_lshlrev_b64 v[37:38], 4, v[1:2]
	s_waitcnt lgkmcnt(0)
	v_mov_b32_e32 v1, s1
	v_add_co_u32_e32 v33, vcc, s0, v37
	v_addc_co_u32_e32 v34, vcc, v1, v38, vcc
	global_load_dwordx4 v[1:4], v[33:34], off offset:48
	global_load_dwordx4 v[5:8], v[33:34], off offset:32
	;; [unrolled: 1-line block ×3, first 2 shown]
	global_load_dwordx4 v[25:28], v[33:34], off
	global_load_dwordx4 v[29:32], v[33:34], off offset:112
	global_load_dwordx4 v[9:12], v[33:34], off offset:96
	;; [unrolled: 1-line block ×4, first 2 shown]
	v_lshlrev_b32_e32 v39, 4, v0
	v_cmp_ne_u32_e32 vcc, 0, v0
	v_add_u32_e32 v0, -16, v39
	s_movk_i32 s4, 0x64
.LBB53_1:                               ; =>This Inner Loop Header: Depth=1
	s_waitcnt vmcnt(4)
	v_mov_b32_e32 v36, v28
	v_mov_b32_e32 v34, v26
	;; [unrolled: 1-line block ×4, first 2 shown]
	s_waitcnt vmcnt(3)
	ds_write2_b64 v39, v[29:30], v[31:32] offset1:1
	s_waitcnt vmcnt(0) lgkmcnt(0)
	s_barrier
	s_and_saveexec_b64 s[0:1], vcc
; %bb.2:                                ;   in Loop: Header=BB53_1 Depth=1
	ds_read2_b64 v[33:36], v0 offset1:1
; %bb.3:                                ;   in Loop: Header=BB53_1 Depth=1
	s_or_b64 exec, exec, s[0:1]
	s_add_i32 s4, s4, -1
	s_cmp_lg_u32 s4, 0
	s_waitcnt lgkmcnt(0)
	s_barrier
	s_cbranch_scc0 .LBB53_5
; %bb.4:                                ;   in Loop: Header=BB53_1 Depth=1
	v_mov_b32_e32 v32, v12
	v_mov_b32_e32 v30, v10
	;; [unrolled: 1-line block ×32, first 2 shown]
	s_branch .LBB53_1
.LBB53_5:
	v_mov_b32_e32 v0, s3
	v_add_co_u32_e32 v29, vcc, s2, v37
	v_addc_co_u32_e32 v30, vcc, v0, v38, vcc
	global_store_dwordx4 v[29:30], v[33:36], off
	global_store_dwordx4 v[29:30], v[25:28], off offset:16
	global_store_dwordx4 v[29:30], v[21:24], off offset:32
	;; [unrolled: 1-line block ×7, first 2 shown]
	s_endpgm
	.section	.rodata,"a",@progbits
	.p2align	6, 0x0
	.amdhsa_kernel _Z6kernelI2upN15benchmark_utils11custom_typeIddEELj256ELj8ELj100EEvPKT0_PS4_
		.amdhsa_group_segment_fixed_size 4096
		.amdhsa_private_segment_fixed_size 0
		.amdhsa_kernarg_size 16
		.amdhsa_user_sgpr_count 6
		.amdhsa_user_sgpr_private_segment_buffer 1
		.amdhsa_user_sgpr_dispatch_ptr 0
		.amdhsa_user_sgpr_queue_ptr 0
		.amdhsa_user_sgpr_kernarg_segment_ptr 1
		.amdhsa_user_sgpr_dispatch_id 0
		.amdhsa_user_sgpr_flat_scratch_init 0
		.amdhsa_user_sgpr_private_segment_size 0
		.amdhsa_uses_dynamic_stack 0
		.amdhsa_system_sgpr_private_segment_wavefront_offset 0
		.amdhsa_system_sgpr_workgroup_id_x 1
		.amdhsa_system_sgpr_workgroup_id_y 0
		.amdhsa_system_sgpr_workgroup_id_z 0
		.amdhsa_system_sgpr_workgroup_info 0
		.amdhsa_system_vgpr_workitem_id 0
		.amdhsa_next_free_vgpr 40
		.amdhsa_next_free_sgpr 7
		.amdhsa_reserve_vcc 1
		.amdhsa_reserve_flat_scratch 0
		.amdhsa_float_round_mode_32 0
		.amdhsa_float_round_mode_16_64 0
		.amdhsa_float_denorm_mode_32 3
		.amdhsa_float_denorm_mode_16_64 3
		.amdhsa_dx10_clamp 1
		.amdhsa_ieee_mode 1
		.amdhsa_fp16_overflow 0
		.amdhsa_exception_fp_ieee_invalid_op 0
		.amdhsa_exception_fp_denorm_src 0
		.amdhsa_exception_fp_ieee_div_zero 0
		.amdhsa_exception_fp_ieee_overflow 0
		.amdhsa_exception_fp_ieee_underflow 0
		.amdhsa_exception_fp_ieee_inexact 0
		.amdhsa_exception_int_div_zero 0
	.end_amdhsa_kernel
	.section	.text._Z6kernelI2upN15benchmark_utils11custom_typeIddEELj256ELj8ELj100EEvPKT0_PS4_,"axG",@progbits,_Z6kernelI2upN15benchmark_utils11custom_typeIddEELj256ELj8ELj100EEvPKT0_PS4_,comdat
.Lfunc_end53:
	.size	_Z6kernelI2upN15benchmark_utils11custom_typeIddEELj256ELj8ELj100EEvPKT0_PS4_, .Lfunc_end53-_Z6kernelI2upN15benchmark_utils11custom_typeIddEELj256ELj8ELj100EEvPKT0_PS4_
                                        ; -- End function
	.set _Z6kernelI2upN15benchmark_utils11custom_typeIddEELj256ELj8ELj100EEvPKT0_PS4_.num_vgpr, 40
	.set _Z6kernelI2upN15benchmark_utils11custom_typeIddEELj256ELj8ELj100EEvPKT0_PS4_.num_agpr, 0
	.set _Z6kernelI2upN15benchmark_utils11custom_typeIddEELj256ELj8ELj100EEvPKT0_PS4_.numbered_sgpr, 7
	.set _Z6kernelI2upN15benchmark_utils11custom_typeIddEELj256ELj8ELj100EEvPKT0_PS4_.num_named_barrier, 0
	.set _Z6kernelI2upN15benchmark_utils11custom_typeIddEELj256ELj8ELj100EEvPKT0_PS4_.private_seg_size, 0
	.set _Z6kernelI2upN15benchmark_utils11custom_typeIddEELj256ELj8ELj100EEvPKT0_PS4_.uses_vcc, 1
	.set _Z6kernelI2upN15benchmark_utils11custom_typeIddEELj256ELj8ELj100EEvPKT0_PS4_.uses_flat_scratch, 0
	.set _Z6kernelI2upN15benchmark_utils11custom_typeIddEELj256ELj8ELj100EEvPKT0_PS4_.has_dyn_sized_stack, 0
	.set _Z6kernelI2upN15benchmark_utils11custom_typeIddEELj256ELj8ELj100EEvPKT0_PS4_.has_recursion, 0
	.set _Z6kernelI2upN15benchmark_utils11custom_typeIddEELj256ELj8ELj100EEvPKT0_PS4_.has_indirect_call, 0
	.section	.AMDGPU.csdata,"",@progbits
; Kernel info:
; codeLenInByte = 416
; TotalNumSgprs: 11
; NumVgprs: 40
; ScratchSize: 0
; MemoryBound: 1
; FloatMode: 240
; IeeeMode: 1
; LDSByteSize: 4096 bytes/workgroup (compile time only)
; SGPRBlocks: 1
; VGPRBlocks: 9
; NumSGPRsForWavesPerEU: 11
; NumVGPRsForWavesPerEU: 40
; Occupancy: 6
; WaveLimiterHint : 0
; COMPUTE_PGM_RSRC2:SCRATCH_EN: 0
; COMPUTE_PGM_RSRC2:USER_SGPR: 6
; COMPUTE_PGM_RSRC2:TRAP_HANDLER: 0
; COMPUTE_PGM_RSRC2:TGID_X_EN: 1
; COMPUTE_PGM_RSRC2:TGID_Y_EN: 0
; COMPUTE_PGM_RSRC2:TGID_Z_EN: 0
; COMPUTE_PGM_RSRC2:TIDIG_COMP_CNT: 0
	.section	.text._Z6kernelI2upN15benchmark_utils11custom_typeIddEELj256ELj16ELj100EEvPKT0_PS4_,"axG",@progbits,_Z6kernelI2upN15benchmark_utils11custom_typeIddEELj256ELj16ELj100EEvPKT0_PS4_,comdat
	.protected	_Z6kernelI2upN15benchmark_utils11custom_typeIddEELj256ELj16ELj100EEvPKT0_PS4_ ; -- Begin function _Z6kernelI2upN15benchmark_utils11custom_typeIddEELj256ELj16ELj100EEvPKT0_PS4_
	.globl	_Z6kernelI2upN15benchmark_utils11custom_typeIddEELj256ELj16ELj100EEvPKT0_PS4_
	.p2align	8
	.type	_Z6kernelI2upN15benchmark_utils11custom_typeIddEELj256ELj16ELj100EEvPKT0_PS4_,@function
_Z6kernelI2upN15benchmark_utils11custom_typeIddEELj256ELj16ELj100EEvPKT0_PS4_: ; @_Z6kernelI2upN15benchmark_utils11custom_typeIddEELj256ELj16ELj100EEvPKT0_PS4_
; %bb.0:
	s_load_dwordx4 s[0:3], s[4:5], 0x0
	v_lshlrev_b32_e32 v71, 4, v0
	v_lshl_or_b32 v1, s6, 12, v71
	v_mov_b32_e32 v2, 0
	v_lshlrev_b64 v[69:70], 4, v[1:2]
	s_waitcnt lgkmcnt(0)
	v_mov_b32_e32 v1, s1
	v_add_co_u32_e32 v21, vcc, s0, v69
	v_addc_co_u32_e32 v22, vcc, v1, v70, vcc
	global_load_dwordx4 v[1:4], v[21:22], off offset:48
	global_load_dwordx4 v[5:8], v[21:22], off offset:32
	;; [unrolled: 1-line block ×3, first 2 shown]
	global_load_dwordx4 v[57:60], v[21:22], off
	global_load_dwordx4 v[33:36], v[21:22], off offset:112
	global_load_dwordx4 v[41:44], v[21:22], off offset:96
	;; [unrolled: 1-line block ×11, first 2 shown]
	s_nop 0
	global_load_dwordx4 v[21:24], v[21:22], off offset:192
	v_cmp_ne_u32_e32 vcc, 0, v0
	v_add_u32_e32 v0, -16, v71
	s_movk_i32 s4, 0x64
.LBB54_1:                               ; =>This Inner Loop Header: Depth=1
	s_waitcnt vmcnt(12)
	v_mov_b32_e32 v68, v60
	v_mov_b32_e32 v66, v58
	;; [unrolled: 1-line block ×4, first 2 shown]
	s_waitcnt vmcnt(3)
	ds_write2_b64 v71, v[61:62], v[63:64] offset1:1
	s_waitcnt vmcnt(0) lgkmcnt(0)
	s_barrier
	s_and_saveexec_b64 s[0:1], vcc
; %bb.2:                                ;   in Loop: Header=BB54_1 Depth=1
	ds_read2_b64 v[65:68], v0 offset1:1
; %bb.3:                                ;   in Loop: Header=BB54_1 Depth=1
	s_or_b64 exec, exec, s[0:1]
	s_add_i32 s4, s4, -1
	s_cmp_lg_u32 s4, 0
	s_waitcnt lgkmcnt(0)
	s_barrier
	s_cbranch_scc0 .LBB54_5
; %bb.4:                                ;   in Loop: Header=BB54_1 Depth=1
	v_mov_b32_e32 v64, v12
	v_mov_b32_e32 v62, v10
	;; [unrolled: 1-line block ×64, first 2 shown]
	s_branch .LBB54_1
.LBB54_5:
	v_mov_b32_e32 v0, s3
	v_add_co_u32_e32 v61, vcc, s2, v69
	v_addc_co_u32_e32 v62, vcc, v0, v70, vcc
	global_store_dwordx4 v[61:62], v[65:68], off
	global_store_dwordx4 v[61:62], v[57:60], off offset:16
	global_store_dwordx4 v[61:62], v[53:56], off offset:32
	;; [unrolled: 1-line block ×15, first 2 shown]
	s_endpgm
	.section	.rodata,"a",@progbits
	.p2align	6, 0x0
	.amdhsa_kernel _Z6kernelI2upN15benchmark_utils11custom_typeIddEELj256ELj16ELj100EEvPKT0_PS4_
		.amdhsa_group_segment_fixed_size 4096
		.amdhsa_private_segment_fixed_size 0
		.amdhsa_kernarg_size 16
		.amdhsa_user_sgpr_count 6
		.amdhsa_user_sgpr_private_segment_buffer 1
		.amdhsa_user_sgpr_dispatch_ptr 0
		.amdhsa_user_sgpr_queue_ptr 0
		.amdhsa_user_sgpr_kernarg_segment_ptr 1
		.amdhsa_user_sgpr_dispatch_id 0
		.amdhsa_user_sgpr_flat_scratch_init 0
		.amdhsa_user_sgpr_private_segment_size 0
		.amdhsa_uses_dynamic_stack 0
		.amdhsa_system_sgpr_private_segment_wavefront_offset 0
		.amdhsa_system_sgpr_workgroup_id_x 1
		.amdhsa_system_sgpr_workgroup_id_y 0
		.amdhsa_system_sgpr_workgroup_id_z 0
		.amdhsa_system_sgpr_workgroup_info 0
		.amdhsa_system_vgpr_workitem_id 0
		.amdhsa_next_free_vgpr 72
		.amdhsa_next_free_sgpr 7
		.amdhsa_reserve_vcc 1
		.amdhsa_reserve_flat_scratch 0
		.amdhsa_float_round_mode_32 0
		.amdhsa_float_round_mode_16_64 0
		.amdhsa_float_denorm_mode_32 3
		.amdhsa_float_denorm_mode_16_64 3
		.amdhsa_dx10_clamp 1
		.amdhsa_ieee_mode 1
		.amdhsa_fp16_overflow 0
		.amdhsa_exception_fp_ieee_invalid_op 0
		.amdhsa_exception_fp_denorm_src 0
		.amdhsa_exception_fp_ieee_div_zero 0
		.amdhsa_exception_fp_ieee_overflow 0
		.amdhsa_exception_fp_ieee_underflow 0
		.amdhsa_exception_fp_ieee_inexact 0
		.amdhsa_exception_int_div_zero 0
	.end_amdhsa_kernel
	.section	.text._Z6kernelI2upN15benchmark_utils11custom_typeIddEELj256ELj16ELj100EEvPKT0_PS4_,"axG",@progbits,_Z6kernelI2upN15benchmark_utils11custom_typeIddEELj256ELj16ELj100EEvPKT0_PS4_,comdat
.Lfunc_end54:
	.size	_Z6kernelI2upN15benchmark_utils11custom_typeIddEELj256ELj16ELj100EEvPKT0_PS4_, .Lfunc_end54-_Z6kernelI2upN15benchmark_utils11custom_typeIddEELj256ELj16ELj100EEvPKT0_PS4_
                                        ; -- End function
	.set _Z6kernelI2upN15benchmark_utils11custom_typeIddEELj256ELj16ELj100EEvPKT0_PS4_.num_vgpr, 72
	.set _Z6kernelI2upN15benchmark_utils11custom_typeIddEELj256ELj16ELj100EEvPKT0_PS4_.num_agpr, 0
	.set _Z6kernelI2upN15benchmark_utils11custom_typeIddEELj256ELj16ELj100EEvPKT0_PS4_.numbered_sgpr, 7
	.set _Z6kernelI2upN15benchmark_utils11custom_typeIddEELj256ELj16ELj100EEvPKT0_PS4_.num_named_barrier, 0
	.set _Z6kernelI2upN15benchmark_utils11custom_typeIddEELj256ELj16ELj100EEvPKT0_PS4_.private_seg_size, 0
	.set _Z6kernelI2upN15benchmark_utils11custom_typeIddEELj256ELj16ELj100EEvPKT0_PS4_.uses_vcc, 1
	.set _Z6kernelI2upN15benchmark_utils11custom_typeIddEELj256ELj16ELj100EEvPKT0_PS4_.uses_flat_scratch, 0
	.set _Z6kernelI2upN15benchmark_utils11custom_typeIddEELj256ELj16ELj100EEvPKT0_PS4_.has_dyn_sized_stack, 0
	.set _Z6kernelI2upN15benchmark_utils11custom_typeIddEELj256ELj16ELj100EEvPKT0_PS4_.has_recursion, 0
	.set _Z6kernelI2upN15benchmark_utils11custom_typeIddEELj256ELj16ELj100EEvPKT0_PS4_.has_indirect_call, 0
	.section	.AMDGPU.csdata,"",@progbits
; Kernel info:
; codeLenInByte = 672
; TotalNumSgprs: 11
; NumVgprs: 72
; ScratchSize: 0
; MemoryBound: 1
; FloatMode: 240
; IeeeMode: 1
; LDSByteSize: 4096 bytes/workgroup (compile time only)
; SGPRBlocks: 1
; VGPRBlocks: 17
; NumSGPRsForWavesPerEU: 11
; NumVGPRsForWavesPerEU: 72
; Occupancy: 3
; WaveLimiterHint : 0
; COMPUTE_PGM_RSRC2:SCRATCH_EN: 0
; COMPUTE_PGM_RSRC2:USER_SGPR: 6
; COMPUTE_PGM_RSRC2:TRAP_HANDLER: 0
; COMPUTE_PGM_RSRC2:TGID_X_EN: 1
; COMPUTE_PGM_RSRC2:TGID_Y_EN: 0
; COMPUTE_PGM_RSRC2:TGID_Z_EN: 0
; COMPUTE_PGM_RSRC2:TIDIG_COMP_CNT: 0
	.section	.text._Z6kernelI2upN15benchmark_utils11custom_typeIddEELj256ELj32ELj100EEvPKT0_PS4_,"axG",@progbits,_Z6kernelI2upN15benchmark_utils11custom_typeIddEELj256ELj32ELj100EEvPKT0_PS4_,comdat
	.protected	_Z6kernelI2upN15benchmark_utils11custom_typeIddEELj256ELj32ELj100EEvPKT0_PS4_ ; -- Begin function _Z6kernelI2upN15benchmark_utils11custom_typeIddEELj256ELj32ELj100EEvPKT0_PS4_
	.globl	_Z6kernelI2upN15benchmark_utils11custom_typeIddEELj256ELj32ELj100EEvPKT0_PS4_
	.p2align	8
	.type	_Z6kernelI2upN15benchmark_utils11custom_typeIddEELj256ELj32ELj100EEvPKT0_PS4_,@function
_Z6kernelI2upN15benchmark_utils11custom_typeIddEELj256ELj32ELj100EEvPKT0_PS4_: ; @_Z6kernelI2upN15benchmark_utils11custom_typeIddEELj256ELj32ELj100EEvPKT0_PS4_
; %bb.0:
	s_load_dwordx4 s[0:3], s[4:5], 0x0
	v_lshlrev_b32_e32 v1, 5, v0
	v_lshl_or_b32 v1, s6, 13, v1
	v_mov_b32_e32 v2, 0
	v_lshlrev_b64 v[133:134], 4, v[1:2]
	s_waitcnt lgkmcnt(0)
	v_mov_b32_e32 v1, s1
	v_add_co_u32_e32 v21, vcc, s0, v133
	v_addc_co_u32_e32 v22, vcc, v1, v134, vcc
	global_load_dwordx4 v[1:4], v[21:22], off offset:48
	global_load_dwordx4 v[5:8], v[21:22], off offset:32
	global_load_dwordx4 v[117:120], v[21:22], off offset:16
	global_load_dwordx4 v[121:124], v[21:22], off
	global_load_dwordx4 v[97:100], v[21:22], off offset:112
	global_load_dwordx4 v[105:108], v[21:22], off offset:96
	;; [unrolled: 1-line block ×27, first 2 shown]
	s_nop 0
	global_load_dwordx4 v[21:24], v[21:22], off offset:448
	v_lshlrev_b32_e32 v135, 4, v0
	v_cmp_ne_u32_e32 vcc, 0, v0
	v_add_u32_e32 v0, -16, v135
	s_movk_i32 s4, 0x64
.LBB55_1:                               ; =>This Inner Loop Header: Depth=1
	s_waitcnt vmcnt(28)
	v_mov_b32_e32 v132, v124
	v_mov_b32_e32 v130, v122
	;; [unrolled: 1-line block ×4, first 2 shown]
	s_waitcnt vmcnt(3)
	ds_write2_b64 v135, v[125:126], v[127:128] offset1:1
	s_waitcnt vmcnt(0) lgkmcnt(0)
	s_barrier
	s_and_saveexec_b64 s[0:1], vcc
; %bb.2:                                ;   in Loop: Header=BB55_1 Depth=1
	ds_read2_b64 v[129:132], v0 offset1:1
; %bb.3:                                ;   in Loop: Header=BB55_1 Depth=1
	s_or_b64 exec, exec, s[0:1]
	s_add_i32 s4, s4, -1
	s_cmp_lg_u32 s4, 0
	s_waitcnt lgkmcnt(0)
	s_barrier
	s_cbranch_scc0 .LBB55_5
; %bb.4:                                ;   in Loop: Header=BB55_1 Depth=1
	v_mov_b32_e32 v128, v12
	v_mov_b32_e32 v126, v10
	;; [unrolled: 1-line block ×128, first 2 shown]
	s_branch .LBB55_1
.LBB55_5:
	v_mov_b32_e32 v0, s3
	v_add_co_u32_e32 v125, vcc, s2, v133
	v_addc_co_u32_e32 v126, vcc, v0, v134, vcc
	global_store_dwordx4 v[125:126], v[129:132], off
	global_store_dwordx4 v[125:126], v[121:124], off offset:16
	global_store_dwordx4 v[125:126], v[117:120], off offset:32
	;; [unrolled: 1-line block ×31, first 2 shown]
	s_endpgm
	.section	.rodata,"a",@progbits
	.p2align	6, 0x0
	.amdhsa_kernel _Z6kernelI2upN15benchmark_utils11custom_typeIddEELj256ELj32ELj100EEvPKT0_PS4_
		.amdhsa_group_segment_fixed_size 4096
		.amdhsa_private_segment_fixed_size 0
		.amdhsa_kernarg_size 16
		.amdhsa_user_sgpr_count 6
		.amdhsa_user_sgpr_private_segment_buffer 1
		.amdhsa_user_sgpr_dispatch_ptr 0
		.amdhsa_user_sgpr_queue_ptr 0
		.amdhsa_user_sgpr_kernarg_segment_ptr 1
		.amdhsa_user_sgpr_dispatch_id 0
		.amdhsa_user_sgpr_flat_scratch_init 0
		.amdhsa_user_sgpr_private_segment_size 0
		.amdhsa_uses_dynamic_stack 0
		.amdhsa_system_sgpr_private_segment_wavefront_offset 0
		.amdhsa_system_sgpr_workgroup_id_x 1
		.amdhsa_system_sgpr_workgroup_id_y 0
		.amdhsa_system_sgpr_workgroup_id_z 0
		.amdhsa_system_sgpr_workgroup_info 0
		.amdhsa_system_vgpr_workitem_id 0
		.amdhsa_next_free_vgpr 136
		.amdhsa_next_free_sgpr 7
		.amdhsa_reserve_vcc 1
		.amdhsa_reserve_flat_scratch 0
		.amdhsa_float_round_mode_32 0
		.amdhsa_float_round_mode_16_64 0
		.amdhsa_float_denorm_mode_32 3
		.amdhsa_float_denorm_mode_16_64 3
		.amdhsa_dx10_clamp 1
		.amdhsa_ieee_mode 1
		.amdhsa_fp16_overflow 0
		.amdhsa_exception_fp_ieee_invalid_op 0
		.amdhsa_exception_fp_denorm_src 0
		.amdhsa_exception_fp_ieee_div_zero 0
		.amdhsa_exception_fp_ieee_overflow 0
		.amdhsa_exception_fp_ieee_underflow 0
		.amdhsa_exception_fp_ieee_inexact 0
		.amdhsa_exception_int_div_zero 0
	.end_amdhsa_kernel
	.section	.text._Z6kernelI2upN15benchmark_utils11custom_typeIddEELj256ELj32ELj100EEvPKT0_PS4_,"axG",@progbits,_Z6kernelI2upN15benchmark_utils11custom_typeIddEELj256ELj32ELj100EEvPKT0_PS4_,comdat
.Lfunc_end55:
	.size	_Z6kernelI2upN15benchmark_utils11custom_typeIddEELj256ELj32ELj100EEvPKT0_PS4_, .Lfunc_end55-_Z6kernelI2upN15benchmark_utils11custom_typeIddEELj256ELj32ELj100EEvPKT0_PS4_
                                        ; -- End function
	.set _Z6kernelI2upN15benchmark_utils11custom_typeIddEELj256ELj32ELj100EEvPKT0_PS4_.num_vgpr, 136
	.set _Z6kernelI2upN15benchmark_utils11custom_typeIddEELj256ELj32ELj100EEvPKT0_PS4_.num_agpr, 0
	.set _Z6kernelI2upN15benchmark_utils11custom_typeIddEELj256ELj32ELj100EEvPKT0_PS4_.numbered_sgpr, 7
	.set _Z6kernelI2upN15benchmark_utils11custom_typeIddEELj256ELj32ELj100EEvPKT0_PS4_.num_named_barrier, 0
	.set _Z6kernelI2upN15benchmark_utils11custom_typeIddEELj256ELj32ELj100EEvPKT0_PS4_.private_seg_size, 0
	.set _Z6kernelI2upN15benchmark_utils11custom_typeIddEELj256ELj32ELj100EEvPKT0_PS4_.uses_vcc, 1
	.set _Z6kernelI2upN15benchmark_utils11custom_typeIddEELj256ELj32ELj100EEvPKT0_PS4_.uses_flat_scratch, 0
	.set _Z6kernelI2upN15benchmark_utils11custom_typeIddEELj256ELj32ELj100EEvPKT0_PS4_.has_dyn_sized_stack, 0
	.set _Z6kernelI2upN15benchmark_utils11custom_typeIddEELj256ELj32ELj100EEvPKT0_PS4_.has_recursion, 0
	.set _Z6kernelI2upN15benchmark_utils11custom_typeIddEELj256ELj32ELj100EEvPKT0_PS4_.has_indirect_call, 0
	.section	.AMDGPU.csdata,"",@progbits
; Kernel info:
; codeLenInByte = 1188
; TotalNumSgprs: 11
; NumVgprs: 136
; ScratchSize: 0
; MemoryBound: 1
; FloatMode: 240
; IeeeMode: 1
; LDSByteSize: 4096 bytes/workgroup (compile time only)
; SGPRBlocks: 1
; VGPRBlocks: 33
; NumSGPRsForWavesPerEU: 11
; NumVGPRsForWavesPerEU: 136
; Occupancy: 1
; WaveLimiterHint : 0
; COMPUTE_PGM_RSRC2:SCRATCH_EN: 0
; COMPUTE_PGM_RSRC2:USER_SGPR: 6
; COMPUTE_PGM_RSRC2:TRAP_HANDLER: 0
; COMPUTE_PGM_RSRC2:TGID_X_EN: 1
; COMPUTE_PGM_RSRC2:TGID_Y_EN: 0
; COMPUTE_PGM_RSRC2:TGID_Z_EN: 0
; COMPUTE_PGM_RSRC2:TIDIG_COMP_CNT: 0
	.section	.text._Z6kernelI4downiLj256ELj1ELj100EEvPKT0_PS1_,"axG",@progbits,_Z6kernelI4downiLj256ELj1ELj100EEvPKT0_PS1_,comdat
	.protected	_Z6kernelI4downiLj256ELj1ELj100EEvPKT0_PS1_ ; -- Begin function _Z6kernelI4downiLj256ELj1ELj100EEvPKT0_PS1_
	.globl	_Z6kernelI4downiLj256ELj1ELj100EEvPKT0_PS1_
	.p2align	8
	.type	_Z6kernelI4downiLj256ELj1ELj100EEvPKT0_PS1_,@function
_Z6kernelI4downiLj256ELj1ELj100EEvPKT0_PS1_: ; @_Z6kernelI4downiLj256ELj1ELj100EEvPKT0_PS1_
; %bb.0:
	s_load_dwordx4 s[0:3], s[4:5], 0x0
	v_lshl_or_b32 v1, s6, 8, v0
	v_mov_b32_e32 v2, 0
	v_lshlrev_b64 v[1:2], 2, v[1:2]
	s_movk_i32 s4, 0x64
	s_waitcnt lgkmcnt(0)
	v_mov_b32_e32 v4, s1
	v_add_co_u32_e32 v3, vcc, s0, v1
	v_addc_co_u32_e32 v4, vcc, v4, v2, vcc
	global_load_dword v3, v[3:4], off
	s_movk_i32 s0, 0xff
	v_lshlrev_b32_e32 v4, 2, v0
	v_cmp_gt_u32_e32 vcc, s0, v0
	s_branch .LBB56_2
.LBB56_1:                               ;   in Loop: Header=BB56_2 Depth=1
	s_or_b64 exec, exec, s[0:1]
	s_add_i32 s4, s4, -1
	s_cmp_lg_u32 s4, 0
	s_waitcnt lgkmcnt(0)
	s_barrier
	s_cbranch_scc0 .LBB56_4
.LBB56_2:                               ; =>This Inner Loop Header: Depth=1
	s_waitcnt vmcnt(0)
	ds_write_b32 v4, v3
	s_waitcnt lgkmcnt(0)
	s_barrier
	s_and_saveexec_b64 s[0:1], vcc
	s_cbranch_execz .LBB56_1
; %bb.3:                                ;   in Loop: Header=BB56_2 Depth=1
	ds_read_b32 v3, v4 offset:4
	s_branch .LBB56_1
.LBB56_4:
	v_mov_b32_e32 v4, s3
	v_add_co_u32_e32 v0, vcc, s2, v1
	v_addc_co_u32_e32 v1, vcc, v4, v2, vcc
	global_store_dword v[0:1], v3, off
	s_endpgm
	.section	.rodata,"a",@progbits
	.p2align	6, 0x0
	.amdhsa_kernel _Z6kernelI4downiLj256ELj1ELj100EEvPKT0_PS1_
		.amdhsa_group_segment_fixed_size 1024
		.amdhsa_private_segment_fixed_size 0
		.amdhsa_kernarg_size 16
		.amdhsa_user_sgpr_count 6
		.amdhsa_user_sgpr_private_segment_buffer 1
		.amdhsa_user_sgpr_dispatch_ptr 0
		.amdhsa_user_sgpr_queue_ptr 0
		.amdhsa_user_sgpr_kernarg_segment_ptr 1
		.amdhsa_user_sgpr_dispatch_id 0
		.amdhsa_user_sgpr_flat_scratch_init 0
		.amdhsa_user_sgpr_private_segment_size 0
		.amdhsa_uses_dynamic_stack 0
		.amdhsa_system_sgpr_private_segment_wavefront_offset 0
		.amdhsa_system_sgpr_workgroup_id_x 1
		.amdhsa_system_sgpr_workgroup_id_y 0
		.amdhsa_system_sgpr_workgroup_id_z 0
		.amdhsa_system_sgpr_workgroup_info 0
		.amdhsa_system_vgpr_workitem_id 0
		.amdhsa_next_free_vgpr 5
		.amdhsa_next_free_sgpr 7
		.amdhsa_reserve_vcc 1
		.amdhsa_reserve_flat_scratch 0
		.amdhsa_float_round_mode_32 0
		.amdhsa_float_round_mode_16_64 0
		.amdhsa_float_denorm_mode_32 3
		.amdhsa_float_denorm_mode_16_64 3
		.amdhsa_dx10_clamp 1
		.amdhsa_ieee_mode 1
		.amdhsa_fp16_overflow 0
		.amdhsa_exception_fp_ieee_invalid_op 0
		.amdhsa_exception_fp_denorm_src 0
		.amdhsa_exception_fp_ieee_div_zero 0
		.amdhsa_exception_fp_ieee_overflow 0
		.amdhsa_exception_fp_ieee_underflow 0
		.amdhsa_exception_fp_ieee_inexact 0
		.amdhsa_exception_int_div_zero 0
	.end_amdhsa_kernel
	.section	.text._Z6kernelI4downiLj256ELj1ELj100EEvPKT0_PS1_,"axG",@progbits,_Z6kernelI4downiLj256ELj1ELj100EEvPKT0_PS1_,comdat
.Lfunc_end56:
	.size	_Z6kernelI4downiLj256ELj1ELj100EEvPKT0_PS1_, .Lfunc_end56-_Z6kernelI4downiLj256ELj1ELj100EEvPKT0_PS1_
                                        ; -- End function
	.set _Z6kernelI4downiLj256ELj1ELj100EEvPKT0_PS1_.num_vgpr, 5
	.set _Z6kernelI4downiLj256ELj1ELj100EEvPKT0_PS1_.num_agpr, 0
	.set _Z6kernelI4downiLj256ELj1ELj100EEvPKT0_PS1_.numbered_sgpr, 7
	.set _Z6kernelI4downiLj256ELj1ELj100EEvPKT0_PS1_.num_named_barrier, 0
	.set _Z6kernelI4downiLj256ELj1ELj100EEvPKT0_PS1_.private_seg_size, 0
	.set _Z6kernelI4downiLj256ELj1ELj100EEvPKT0_PS1_.uses_vcc, 1
	.set _Z6kernelI4downiLj256ELj1ELj100EEvPKT0_PS1_.uses_flat_scratch, 0
	.set _Z6kernelI4downiLj256ELj1ELj100EEvPKT0_PS1_.has_dyn_sized_stack, 0
	.set _Z6kernelI4downiLj256ELj1ELj100EEvPKT0_PS1_.has_recursion, 0
	.set _Z6kernelI4downiLj256ELj1ELj100EEvPKT0_PS1_.has_indirect_call, 0
	.section	.AMDGPU.csdata,"",@progbits
; Kernel info:
; codeLenInByte = 160
; TotalNumSgprs: 11
; NumVgprs: 5
; ScratchSize: 0
; MemoryBound: 0
; FloatMode: 240
; IeeeMode: 1
; LDSByteSize: 1024 bytes/workgroup (compile time only)
; SGPRBlocks: 1
; VGPRBlocks: 1
; NumSGPRsForWavesPerEU: 11
; NumVGPRsForWavesPerEU: 5
; Occupancy: 10
; WaveLimiterHint : 0
; COMPUTE_PGM_RSRC2:SCRATCH_EN: 0
; COMPUTE_PGM_RSRC2:USER_SGPR: 6
; COMPUTE_PGM_RSRC2:TRAP_HANDLER: 0
; COMPUTE_PGM_RSRC2:TGID_X_EN: 1
; COMPUTE_PGM_RSRC2:TGID_Y_EN: 0
; COMPUTE_PGM_RSRC2:TGID_Z_EN: 0
; COMPUTE_PGM_RSRC2:TIDIG_COMP_CNT: 0
	.section	.text._Z6kernelI4downiLj256ELj3ELj100EEvPKT0_PS1_,"axG",@progbits,_Z6kernelI4downiLj256ELj3ELj100EEvPKT0_PS1_,comdat
	.protected	_Z6kernelI4downiLj256ELj3ELj100EEvPKT0_PS1_ ; -- Begin function _Z6kernelI4downiLj256ELj3ELj100EEvPKT0_PS1_
	.globl	_Z6kernelI4downiLj256ELj3ELj100EEvPKT0_PS1_
	.p2align	8
	.type	_Z6kernelI4downiLj256ELj3ELj100EEvPKT0_PS1_,@function
_Z6kernelI4downiLj256ELj3ELj100EEvPKT0_PS1_: ; @_Z6kernelI4downiLj256ELj3ELj100EEvPKT0_PS1_
; %bb.0:
	s_load_dwordx4 s[0:3], s[4:5], 0x0
	v_lshl_or_b32 v1, s6, 8, v0
	v_lshl_add_u32 v5, v1, 1, v1
	v_mov_b32_e32 v6, 0
	v_lshlrev_b64 v[1:2], 2, v[5:6]
	s_waitcnt lgkmcnt(0)
	v_mov_b32_e32 v3, s1
	v_add_co_u32_e32 v11, vcc, s0, v1
	v_addc_co_u32_e32 v12, vcc, v3, v2, vcc
	v_add_u32_e32 v3, 1, v5
	v_mov_b32_e32 v4, v6
	v_lshlrev_b64 v[3:4], 2, v[3:4]
	v_add_u32_e32 v5, 2, v5
	v_mov_b32_e32 v7, s1
	v_add_co_u32_e32 v13, vcc, s0, v3
	v_lshlrev_b64 v[5:6], 2, v[5:6]
	v_addc_co_u32_e32 v14, vcc, v7, v4, vcc
	v_add_co_u32_e32 v15, vcc, s0, v5
	v_addc_co_u32_e32 v16, vcc, v7, v6, vcc
	global_load_dword v10, v[11:12], off
	global_load_dword v7, v[15:16], off
	;; [unrolled: 1-line block ×3, first 2 shown]
	s_movk_i32 s0, 0xff
	v_lshlrev_b32_e32 v9, 2, v0
	v_cmp_gt_u32_e32 vcc, s0, v0
	s_movk_i32 s4, 0x64
	s_waitcnt vmcnt(1)
	v_mov_b32_e32 v0, v7
.LBB57_1:                               ; =>This Inner Loop Header: Depth=1
	ds_write_b32 v9, v10
	s_waitcnt vmcnt(0) lgkmcnt(0)
	s_barrier
	s_and_saveexec_b64 s[0:1], vcc
; %bb.2:                                ;   in Loop: Header=BB57_1 Depth=1
	ds_read_b32 v0, v9 offset:4
; %bb.3:                                ;   in Loop: Header=BB57_1 Depth=1
	s_or_b64 exec, exec, s[0:1]
	s_add_i32 s4, s4, -1
	s_cmp_lg_u32 s4, 0
	s_waitcnt lgkmcnt(0)
	s_barrier
	s_cbranch_scc0 .LBB57_5
; %bb.4:                                ;   in Loop: Header=BB57_1 Depth=1
	v_mov_b32_e32 v10, v8
	v_mov_b32_e32 v8, v7
	;; [unrolled: 1-line block ×3, first 2 shown]
	s_branch .LBB57_1
.LBB57_5:
	v_mov_b32_e32 v9, s3
	v_add_co_u32_e32 v1, vcc, s2, v1
	v_addc_co_u32_e32 v2, vcc, v9, v2, vcc
	global_store_dword v[1:2], v8, off
	v_mov_b32_e32 v2, s3
	v_add_co_u32_e32 v1, vcc, s2, v3
	v_addc_co_u32_e32 v2, vcc, v2, v4, vcc
	global_store_dword v[1:2], v7, off
	;; [unrolled: 4-line block ×3, first 2 shown]
	s_endpgm
	.section	.rodata,"a",@progbits
	.p2align	6, 0x0
	.amdhsa_kernel _Z6kernelI4downiLj256ELj3ELj100EEvPKT0_PS1_
		.amdhsa_group_segment_fixed_size 1024
		.amdhsa_private_segment_fixed_size 0
		.amdhsa_kernarg_size 16
		.amdhsa_user_sgpr_count 6
		.amdhsa_user_sgpr_private_segment_buffer 1
		.amdhsa_user_sgpr_dispatch_ptr 0
		.amdhsa_user_sgpr_queue_ptr 0
		.amdhsa_user_sgpr_kernarg_segment_ptr 1
		.amdhsa_user_sgpr_dispatch_id 0
		.amdhsa_user_sgpr_flat_scratch_init 0
		.amdhsa_user_sgpr_private_segment_size 0
		.amdhsa_uses_dynamic_stack 0
		.amdhsa_system_sgpr_private_segment_wavefront_offset 0
		.amdhsa_system_sgpr_workgroup_id_x 1
		.amdhsa_system_sgpr_workgroup_id_y 0
		.amdhsa_system_sgpr_workgroup_id_z 0
		.amdhsa_system_sgpr_workgroup_info 0
		.amdhsa_system_vgpr_workitem_id 0
		.amdhsa_next_free_vgpr 17
		.amdhsa_next_free_sgpr 7
		.amdhsa_reserve_vcc 1
		.amdhsa_reserve_flat_scratch 0
		.amdhsa_float_round_mode_32 0
		.amdhsa_float_round_mode_16_64 0
		.amdhsa_float_denorm_mode_32 3
		.amdhsa_float_denorm_mode_16_64 3
		.amdhsa_dx10_clamp 1
		.amdhsa_ieee_mode 1
		.amdhsa_fp16_overflow 0
		.amdhsa_exception_fp_ieee_invalid_op 0
		.amdhsa_exception_fp_denorm_src 0
		.amdhsa_exception_fp_ieee_div_zero 0
		.amdhsa_exception_fp_ieee_overflow 0
		.amdhsa_exception_fp_ieee_underflow 0
		.amdhsa_exception_fp_ieee_inexact 0
		.amdhsa_exception_int_div_zero 0
	.end_amdhsa_kernel
	.section	.text._Z6kernelI4downiLj256ELj3ELj100EEvPKT0_PS1_,"axG",@progbits,_Z6kernelI4downiLj256ELj3ELj100EEvPKT0_PS1_,comdat
.Lfunc_end57:
	.size	_Z6kernelI4downiLj256ELj3ELj100EEvPKT0_PS1_, .Lfunc_end57-_Z6kernelI4downiLj256ELj3ELj100EEvPKT0_PS1_
                                        ; -- End function
	.set _Z6kernelI4downiLj256ELj3ELj100EEvPKT0_PS1_.num_vgpr, 17
	.set _Z6kernelI4downiLj256ELj3ELj100EEvPKT0_PS1_.num_agpr, 0
	.set _Z6kernelI4downiLj256ELj3ELj100EEvPKT0_PS1_.numbered_sgpr, 7
	.set _Z6kernelI4downiLj256ELj3ELj100EEvPKT0_PS1_.num_named_barrier, 0
	.set _Z6kernelI4downiLj256ELj3ELj100EEvPKT0_PS1_.private_seg_size, 0
	.set _Z6kernelI4downiLj256ELj3ELj100EEvPKT0_PS1_.uses_vcc, 1
	.set _Z6kernelI4downiLj256ELj3ELj100EEvPKT0_PS1_.uses_flat_scratch, 0
	.set _Z6kernelI4downiLj256ELj3ELj100EEvPKT0_PS1_.has_dyn_sized_stack, 0
	.set _Z6kernelI4downiLj256ELj3ELj100EEvPKT0_PS1_.has_recursion, 0
	.set _Z6kernelI4downiLj256ELj3ELj100EEvPKT0_PS1_.has_indirect_call, 0
	.section	.AMDGPU.csdata,"",@progbits
; Kernel info:
; codeLenInByte = 280
; TotalNumSgprs: 11
; NumVgprs: 17
; ScratchSize: 0
; MemoryBound: 0
; FloatMode: 240
; IeeeMode: 1
; LDSByteSize: 1024 bytes/workgroup (compile time only)
; SGPRBlocks: 1
; VGPRBlocks: 4
; NumSGPRsForWavesPerEU: 11
; NumVGPRsForWavesPerEU: 17
; Occupancy: 10
; WaveLimiterHint : 0
; COMPUTE_PGM_RSRC2:SCRATCH_EN: 0
; COMPUTE_PGM_RSRC2:USER_SGPR: 6
; COMPUTE_PGM_RSRC2:TRAP_HANDLER: 0
; COMPUTE_PGM_RSRC2:TGID_X_EN: 1
; COMPUTE_PGM_RSRC2:TGID_Y_EN: 0
; COMPUTE_PGM_RSRC2:TGID_Z_EN: 0
; COMPUTE_PGM_RSRC2:TIDIG_COMP_CNT: 0
	.section	.text._Z6kernelI4downiLj256ELj4ELj100EEvPKT0_PS1_,"axG",@progbits,_Z6kernelI4downiLj256ELj4ELj100EEvPKT0_PS1_,comdat
	.protected	_Z6kernelI4downiLj256ELj4ELj100EEvPKT0_PS1_ ; -- Begin function _Z6kernelI4downiLj256ELj4ELj100EEvPKT0_PS1_
	.globl	_Z6kernelI4downiLj256ELj4ELj100EEvPKT0_PS1_
	.p2align	8
	.type	_Z6kernelI4downiLj256ELj4ELj100EEvPKT0_PS1_,@function
_Z6kernelI4downiLj256ELj4ELj100EEvPKT0_PS1_: ; @_Z6kernelI4downiLj256ELj4ELj100EEvPKT0_PS1_
; %bb.0:
	s_load_dwordx4 s[0:3], s[4:5], 0x0
	v_lshlrev_b32_e32 v8, 2, v0
	v_lshl_or_b32 v1, s6, 10, v8
	v_mov_b32_e32 v2, 0
	v_lshlrev_b64 v[6:7], 2, v[1:2]
	s_waitcnt lgkmcnt(0)
	v_mov_b32_e32 v2, s1
	v_add_co_u32_e32 v1, vcc, s0, v6
	v_addc_co_u32_e32 v2, vcc, v2, v7, vcc
	global_load_dwordx4 v[1:4], v[1:2], off
	s_movk_i32 s0, 0xff
	v_cmp_gt_u32_e32 vcc, s0, v0
	s_movk_i32 s4, 0x64
.LBB58_1:                               ; =>This Inner Loop Header: Depth=1
	s_waitcnt vmcnt(0)
	v_mov_b32_e32 v5, v4
	ds_write_b32 v8, v1
	s_waitcnt lgkmcnt(0)
	s_barrier
	s_and_saveexec_b64 s[0:1], vcc
; %bb.2:                                ;   in Loop: Header=BB58_1 Depth=1
	ds_read_b32 v5, v8 offset:4
; %bb.3:                                ;   in Loop: Header=BB58_1 Depth=1
	s_or_b64 exec, exec, s[0:1]
	s_add_i32 s4, s4, -1
	s_cmp_lg_u32 s4, 0
	s_waitcnt lgkmcnt(0)
	s_barrier
	s_cbranch_scc0 .LBB58_5
; %bb.4:                                ;   in Loop: Header=BB58_1 Depth=1
	v_mov_b32_e32 v1, v2
	v_mov_b32_e32 v2, v3
	;; [unrolled: 1-line block ×4, first 2 shown]
	s_branch .LBB58_1
.LBB58_5:
	v_mov_b32_e32 v1, s3
	v_add_co_u32_e32 v0, vcc, s2, v6
	v_addc_co_u32_e32 v1, vcc, v1, v7, vcc
	global_store_dwordx4 v[0:1], v[2:5], off
	s_endpgm
	.section	.rodata,"a",@progbits
	.p2align	6, 0x0
	.amdhsa_kernel _Z6kernelI4downiLj256ELj4ELj100EEvPKT0_PS1_
		.amdhsa_group_segment_fixed_size 1024
		.amdhsa_private_segment_fixed_size 0
		.amdhsa_kernarg_size 16
		.amdhsa_user_sgpr_count 6
		.amdhsa_user_sgpr_private_segment_buffer 1
		.amdhsa_user_sgpr_dispatch_ptr 0
		.amdhsa_user_sgpr_queue_ptr 0
		.amdhsa_user_sgpr_kernarg_segment_ptr 1
		.amdhsa_user_sgpr_dispatch_id 0
		.amdhsa_user_sgpr_flat_scratch_init 0
		.amdhsa_user_sgpr_private_segment_size 0
		.amdhsa_uses_dynamic_stack 0
		.amdhsa_system_sgpr_private_segment_wavefront_offset 0
		.amdhsa_system_sgpr_workgroup_id_x 1
		.amdhsa_system_sgpr_workgroup_id_y 0
		.amdhsa_system_sgpr_workgroup_id_z 0
		.amdhsa_system_sgpr_workgroup_info 0
		.amdhsa_system_vgpr_workitem_id 0
		.amdhsa_next_free_vgpr 9
		.amdhsa_next_free_sgpr 7
		.amdhsa_reserve_vcc 1
		.amdhsa_reserve_flat_scratch 0
		.amdhsa_float_round_mode_32 0
		.amdhsa_float_round_mode_16_64 0
		.amdhsa_float_denorm_mode_32 3
		.amdhsa_float_denorm_mode_16_64 3
		.amdhsa_dx10_clamp 1
		.amdhsa_ieee_mode 1
		.amdhsa_fp16_overflow 0
		.amdhsa_exception_fp_ieee_invalid_op 0
		.amdhsa_exception_fp_denorm_src 0
		.amdhsa_exception_fp_ieee_div_zero 0
		.amdhsa_exception_fp_ieee_overflow 0
		.amdhsa_exception_fp_ieee_underflow 0
		.amdhsa_exception_fp_ieee_inexact 0
		.amdhsa_exception_int_div_zero 0
	.end_amdhsa_kernel
	.section	.text._Z6kernelI4downiLj256ELj4ELj100EEvPKT0_PS1_,"axG",@progbits,_Z6kernelI4downiLj256ELj4ELj100EEvPKT0_PS1_,comdat
.Lfunc_end58:
	.size	_Z6kernelI4downiLj256ELj4ELj100EEvPKT0_PS1_, .Lfunc_end58-_Z6kernelI4downiLj256ELj4ELj100EEvPKT0_PS1_
                                        ; -- End function
	.set _Z6kernelI4downiLj256ELj4ELj100EEvPKT0_PS1_.num_vgpr, 9
	.set _Z6kernelI4downiLj256ELj4ELj100EEvPKT0_PS1_.num_agpr, 0
	.set _Z6kernelI4downiLj256ELj4ELj100EEvPKT0_PS1_.numbered_sgpr, 7
	.set _Z6kernelI4downiLj256ELj4ELj100EEvPKT0_PS1_.num_named_barrier, 0
	.set _Z6kernelI4downiLj256ELj4ELj100EEvPKT0_PS1_.private_seg_size, 0
	.set _Z6kernelI4downiLj256ELj4ELj100EEvPKT0_PS1_.uses_vcc, 1
	.set _Z6kernelI4downiLj256ELj4ELj100EEvPKT0_PS1_.uses_flat_scratch, 0
	.set _Z6kernelI4downiLj256ELj4ELj100EEvPKT0_PS1_.has_dyn_sized_stack, 0
	.set _Z6kernelI4downiLj256ELj4ELj100EEvPKT0_PS1_.has_recursion, 0
	.set _Z6kernelI4downiLj256ELj4ELj100EEvPKT0_PS1_.has_indirect_call, 0
	.section	.AMDGPU.csdata,"",@progbits
; Kernel info:
; codeLenInByte = 172
; TotalNumSgprs: 11
; NumVgprs: 9
; ScratchSize: 0
; MemoryBound: 0
; FloatMode: 240
; IeeeMode: 1
; LDSByteSize: 1024 bytes/workgroup (compile time only)
; SGPRBlocks: 1
; VGPRBlocks: 2
; NumSGPRsForWavesPerEU: 11
; NumVGPRsForWavesPerEU: 9
; Occupancy: 10
; WaveLimiterHint : 0
; COMPUTE_PGM_RSRC2:SCRATCH_EN: 0
; COMPUTE_PGM_RSRC2:USER_SGPR: 6
; COMPUTE_PGM_RSRC2:TRAP_HANDLER: 0
; COMPUTE_PGM_RSRC2:TGID_X_EN: 1
; COMPUTE_PGM_RSRC2:TGID_Y_EN: 0
; COMPUTE_PGM_RSRC2:TGID_Z_EN: 0
; COMPUTE_PGM_RSRC2:TIDIG_COMP_CNT: 0
	.section	.text._Z6kernelI4downiLj256ELj8ELj100EEvPKT0_PS1_,"axG",@progbits,_Z6kernelI4downiLj256ELj8ELj100EEvPKT0_PS1_,comdat
	.protected	_Z6kernelI4downiLj256ELj8ELj100EEvPKT0_PS1_ ; -- Begin function _Z6kernelI4downiLj256ELj8ELj100EEvPKT0_PS1_
	.globl	_Z6kernelI4downiLj256ELj8ELj100EEvPKT0_PS1_
	.p2align	8
	.type	_Z6kernelI4downiLj256ELj8ELj100EEvPKT0_PS1_,@function
_Z6kernelI4downiLj256ELj8ELj100EEvPKT0_PS1_: ; @_Z6kernelI4downiLj256ELj8ELj100EEvPKT0_PS1_
; %bb.0:
	s_load_dwordx4 s[0:3], s[4:5], 0x0
	v_lshlrev_b32_e32 v1, 3, v0
	v_lshl_or_b32 v1, s6, 11, v1
	v_mov_b32_e32 v2, 0
	v_lshlrev_b64 v[10:11], 2, v[1:2]
	s_waitcnt lgkmcnt(0)
	v_mov_b32_e32 v1, s1
	v_add_co_u32_e32 v12, vcc, s0, v10
	v_addc_co_u32_e32 v13, vcc, v1, v11, vcc
	global_load_dwordx4 v[1:4], v[12:13], off
	global_load_dwordx4 v[5:8], v[12:13], off offset:16
	s_movk_i32 s0, 0xff
	v_lshlrev_b32_e32 v12, 2, v0
	v_cmp_gt_u32_e32 vcc, s0, v0
	s_movk_i32 s4, 0x64
.LBB59_1:                               ; =>This Inner Loop Header: Depth=1
	s_waitcnt vmcnt(0)
	v_mov_b32_e32 v9, v8
	ds_write_b32 v12, v1
	s_waitcnt lgkmcnt(0)
	s_barrier
	s_and_saveexec_b64 s[0:1], vcc
; %bb.2:                                ;   in Loop: Header=BB59_1 Depth=1
	ds_read_b32 v9, v12 offset:4
; %bb.3:                                ;   in Loop: Header=BB59_1 Depth=1
	s_or_b64 exec, exec, s[0:1]
	s_add_i32 s4, s4, -1
	s_cmp_lg_u32 s4, 0
	s_waitcnt lgkmcnt(0)
	s_barrier
	s_cbranch_scc0 .LBB59_5
; %bb.4:                                ;   in Loop: Header=BB59_1 Depth=1
	v_mov_b32_e32 v1, v2
	v_mov_b32_e32 v2, v3
	;; [unrolled: 1-line block ×8, first 2 shown]
	s_branch .LBB59_1
.LBB59_5:
	v_mov_b32_e32 v0, s3
	v_add_co_u32_e32 v10, vcc, s2, v10
	v_addc_co_u32_e32 v11, vcc, v0, v11, vcc
	v_mov_b32_e32 v0, v2
	v_mov_b32_e32 v1, v3
	;; [unrolled: 1-line block ×4, first 2 shown]
	global_store_dwordx4 v[10:11], v[0:3], off
	global_store_dwordx4 v[10:11], v[6:9], off offset:16
	s_endpgm
	.section	.rodata,"a",@progbits
	.p2align	6, 0x0
	.amdhsa_kernel _Z6kernelI4downiLj256ELj8ELj100EEvPKT0_PS1_
		.amdhsa_group_segment_fixed_size 1024
		.amdhsa_private_segment_fixed_size 0
		.amdhsa_kernarg_size 16
		.amdhsa_user_sgpr_count 6
		.amdhsa_user_sgpr_private_segment_buffer 1
		.amdhsa_user_sgpr_dispatch_ptr 0
		.amdhsa_user_sgpr_queue_ptr 0
		.amdhsa_user_sgpr_kernarg_segment_ptr 1
		.amdhsa_user_sgpr_dispatch_id 0
		.amdhsa_user_sgpr_flat_scratch_init 0
		.amdhsa_user_sgpr_private_segment_size 0
		.amdhsa_uses_dynamic_stack 0
		.amdhsa_system_sgpr_private_segment_wavefront_offset 0
		.amdhsa_system_sgpr_workgroup_id_x 1
		.amdhsa_system_sgpr_workgroup_id_y 0
		.amdhsa_system_sgpr_workgroup_id_z 0
		.amdhsa_system_sgpr_workgroup_info 0
		.amdhsa_system_vgpr_workitem_id 0
		.amdhsa_next_free_vgpr 14
		.amdhsa_next_free_sgpr 7
		.amdhsa_reserve_vcc 1
		.amdhsa_reserve_flat_scratch 0
		.amdhsa_float_round_mode_32 0
		.amdhsa_float_round_mode_16_64 0
		.amdhsa_float_denorm_mode_32 3
		.amdhsa_float_denorm_mode_16_64 3
		.amdhsa_dx10_clamp 1
		.amdhsa_ieee_mode 1
		.amdhsa_fp16_overflow 0
		.amdhsa_exception_fp_ieee_invalid_op 0
		.amdhsa_exception_fp_denorm_src 0
		.amdhsa_exception_fp_ieee_div_zero 0
		.amdhsa_exception_fp_ieee_overflow 0
		.amdhsa_exception_fp_ieee_underflow 0
		.amdhsa_exception_fp_ieee_inexact 0
		.amdhsa_exception_int_div_zero 0
	.end_amdhsa_kernel
	.section	.text._Z6kernelI4downiLj256ELj8ELj100EEvPKT0_PS1_,"axG",@progbits,_Z6kernelI4downiLj256ELj8ELj100EEvPKT0_PS1_,comdat
.Lfunc_end59:
	.size	_Z6kernelI4downiLj256ELj8ELj100EEvPKT0_PS1_, .Lfunc_end59-_Z6kernelI4downiLj256ELj8ELj100EEvPKT0_PS1_
                                        ; -- End function
	.set _Z6kernelI4downiLj256ELj8ELj100EEvPKT0_PS1_.num_vgpr, 14
	.set _Z6kernelI4downiLj256ELj8ELj100EEvPKT0_PS1_.num_agpr, 0
	.set _Z6kernelI4downiLj256ELj8ELj100EEvPKT0_PS1_.numbered_sgpr, 7
	.set _Z6kernelI4downiLj256ELj8ELj100EEvPKT0_PS1_.num_named_barrier, 0
	.set _Z6kernelI4downiLj256ELj8ELj100EEvPKT0_PS1_.private_seg_size, 0
	.set _Z6kernelI4downiLj256ELj8ELj100EEvPKT0_PS1_.uses_vcc, 1
	.set _Z6kernelI4downiLj256ELj8ELj100EEvPKT0_PS1_.uses_flat_scratch, 0
	.set _Z6kernelI4downiLj256ELj8ELj100EEvPKT0_PS1_.has_dyn_sized_stack, 0
	.set _Z6kernelI4downiLj256ELj8ELj100EEvPKT0_PS1_.has_recursion, 0
	.set _Z6kernelI4downiLj256ELj8ELj100EEvPKT0_PS1_.has_indirect_call, 0
	.section	.AMDGPU.csdata,"",@progbits
; Kernel info:
; codeLenInByte = 224
; TotalNumSgprs: 11
; NumVgprs: 14
; ScratchSize: 0
; MemoryBound: 0
; FloatMode: 240
; IeeeMode: 1
; LDSByteSize: 1024 bytes/workgroup (compile time only)
; SGPRBlocks: 1
; VGPRBlocks: 3
; NumSGPRsForWavesPerEU: 11
; NumVGPRsForWavesPerEU: 14
; Occupancy: 10
; WaveLimiterHint : 0
; COMPUTE_PGM_RSRC2:SCRATCH_EN: 0
; COMPUTE_PGM_RSRC2:USER_SGPR: 6
; COMPUTE_PGM_RSRC2:TRAP_HANDLER: 0
; COMPUTE_PGM_RSRC2:TGID_X_EN: 1
; COMPUTE_PGM_RSRC2:TGID_Y_EN: 0
; COMPUTE_PGM_RSRC2:TGID_Z_EN: 0
; COMPUTE_PGM_RSRC2:TIDIG_COMP_CNT: 0
	.section	.text._Z6kernelI4downiLj256ELj16ELj100EEvPKT0_PS1_,"axG",@progbits,_Z6kernelI4downiLj256ELj16ELj100EEvPKT0_PS1_,comdat
	.protected	_Z6kernelI4downiLj256ELj16ELj100EEvPKT0_PS1_ ; -- Begin function _Z6kernelI4downiLj256ELj16ELj100EEvPKT0_PS1_
	.globl	_Z6kernelI4downiLj256ELj16ELj100EEvPKT0_PS1_
	.p2align	8
	.type	_Z6kernelI4downiLj256ELj16ELj100EEvPKT0_PS1_,@function
_Z6kernelI4downiLj256ELj16ELj100EEvPKT0_PS1_: ; @_Z6kernelI4downiLj256ELj16ELj100EEvPKT0_PS1_
; %bb.0:
	s_load_dwordx4 s[0:3], s[4:5], 0x0
	v_lshlrev_b32_e32 v1, 4, v0
	v_lshl_or_b32 v1, s6, 12, v1
	v_mov_b32_e32 v2, 0
	v_lshlrev_b64 v[21:22], 2, v[1:2]
	s_waitcnt lgkmcnt(0)
	v_mov_b32_e32 v1, s1
	v_add_co_u32_e32 v17, vcc, s0, v21
	v_addc_co_u32_e32 v18, vcc, v1, v22, vcc
	global_load_dwordx4 v[13:16], v[17:18], off
	global_load_dwordx4 v[9:12], v[17:18], off offset:16
	global_load_dwordx4 v[5:8], v[17:18], off offset:32
	;; [unrolled: 1-line block ×3, first 2 shown]
	s_movk_i32 s0, 0xff
	v_lshlrev_b32_e32 v18, 2, v0
	v_cmp_gt_u32_e32 vcc, s0, v0
	s_movk_i32 s4, 0x64
.LBB60_1:                               ; =>This Inner Loop Header: Depth=1
	s_waitcnt vmcnt(3)
	v_mov_b32_e32 v17, v14
	v_mov_b32_e32 v14, v15
	v_mov_b32_e32 v15, v16
	s_waitcnt vmcnt(2)
	v_mov_b32_e32 v16, v9
	v_mov_b32_e32 v9, v10
	v_mov_b32_e32 v10, v11
	v_mov_b32_e32 v11, v12
	s_waitcnt vmcnt(1)
	v_mov_b32_e32 v12, v5
	;; [unrolled: 5-line block ×3, first 2 shown]
	v_mov_b32_e32 v1, v2
	v_mov_b32_e32 v2, v3
	;; [unrolled: 1-line block ×3, first 2 shown]
	ds_write_b32 v18, v13
	s_waitcnt lgkmcnt(0)
	s_barrier
	s_and_saveexec_b64 s[0:1], vcc
; %bb.2:                                ;   in Loop: Header=BB60_1 Depth=1
	ds_read_b32 v4, v18 offset:4
; %bb.3:                                ;   in Loop: Header=BB60_1 Depth=1
	s_or_b64 exec, exec, s[0:1]
	s_add_i32 s4, s4, -1
	s_cmp_lg_u32 s4, 0
	s_waitcnt lgkmcnt(0)
	s_barrier
	s_cbranch_scc0 .LBB60_5
; %bb.4:                                ;   in Loop: Header=BB60_1 Depth=1
	v_mov_b32_e32 v13, v17
	s_branch .LBB60_1
.LBB60_5:
	v_mov_b32_e32 v0, s3
	v_add_co_u32_e32 v13, vcc, s2, v21
	v_mov_b32_e32 v18, v14
	v_mov_b32_e32 v19, v15
	;; [unrolled: 1-line block ×3, first 2 shown]
	v_addc_co_u32_e32 v14, vcc, v0, v22, vcc
	global_store_dwordx4 v[13:14], v[17:20], off
	global_store_dwordx4 v[13:14], v[9:12], off offset:16
	global_store_dwordx4 v[13:14], v[5:8], off offset:32
	;; [unrolled: 1-line block ×3, first 2 shown]
	s_endpgm
	.section	.rodata,"a",@progbits
	.p2align	6, 0x0
	.amdhsa_kernel _Z6kernelI4downiLj256ELj16ELj100EEvPKT0_PS1_
		.amdhsa_group_segment_fixed_size 1024
		.amdhsa_private_segment_fixed_size 0
		.amdhsa_kernarg_size 16
		.amdhsa_user_sgpr_count 6
		.amdhsa_user_sgpr_private_segment_buffer 1
		.amdhsa_user_sgpr_dispatch_ptr 0
		.amdhsa_user_sgpr_queue_ptr 0
		.amdhsa_user_sgpr_kernarg_segment_ptr 1
		.amdhsa_user_sgpr_dispatch_id 0
		.amdhsa_user_sgpr_flat_scratch_init 0
		.amdhsa_user_sgpr_private_segment_size 0
		.amdhsa_uses_dynamic_stack 0
		.amdhsa_system_sgpr_private_segment_wavefront_offset 0
		.amdhsa_system_sgpr_workgroup_id_x 1
		.amdhsa_system_sgpr_workgroup_id_y 0
		.amdhsa_system_sgpr_workgroup_id_z 0
		.amdhsa_system_sgpr_workgroup_info 0
		.amdhsa_system_vgpr_workitem_id 0
		.amdhsa_next_free_vgpr 23
		.amdhsa_next_free_sgpr 7
		.amdhsa_reserve_vcc 1
		.amdhsa_reserve_flat_scratch 0
		.amdhsa_float_round_mode_32 0
		.amdhsa_float_round_mode_16_64 0
		.amdhsa_float_denorm_mode_32 3
		.amdhsa_float_denorm_mode_16_64 3
		.amdhsa_dx10_clamp 1
		.amdhsa_ieee_mode 1
		.amdhsa_fp16_overflow 0
		.amdhsa_exception_fp_ieee_invalid_op 0
		.amdhsa_exception_fp_denorm_src 0
		.amdhsa_exception_fp_ieee_div_zero 0
		.amdhsa_exception_fp_ieee_overflow 0
		.amdhsa_exception_fp_ieee_underflow 0
		.amdhsa_exception_fp_ieee_inexact 0
		.amdhsa_exception_int_div_zero 0
	.end_amdhsa_kernel
	.section	.text._Z6kernelI4downiLj256ELj16ELj100EEvPKT0_PS1_,"axG",@progbits,_Z6kernelI4downiLj256ELj16ELj100EEvPKT0_PS1_,comdat
.Lfunc_end60:
	.size	_Z6kernelI4downiLj256ELj16ELj100EEvPKT0_PS1_, .Lfunc_end60-_Z6kernelI4downiLj256ELj16ELj100EEvPKT0_PS1_
                                        ; -- End function
	.set _Z6kernelI4downiLj256ELj16ELj100EEvPKT0_PS1_.num_vgpr, 23
	.set _Z6kernelI4downiLj256ELj16ELj100EEvPKT0_PS1_.num_agpr, 0
	.set _Z6kernelI4downiLj256ELj16ELj100EEvPKT0_PS1_.numbered_sgpr, 7
	.set _Z6kernelI4downiLj256ELj16ELj100EEvPKT0_PS1_.num_named_barrier, 0
	.set _Z6kernelI4downiLj256ELj16ELj100EEvPKT0_PS1_.private_seg_size, 0
	.set _Z6kernelI4downiLj256ELj16ELj100EEvPKT0_PS1_.uses_vcc, 1
	.set _Z6kernelI4downiLj256ELj16ELj100EEvPKT0_PS1_.uses_flat_scratch, 0
	.set _Z6kernelI4downiLj256ELj16ELj100EEvPKT0_PS1_.has_dyn_sized_stack, 0
	.set _Z6kernelI4downiLj256ELj16ELj100EEvPKT0_PS1_.has_recursion, 0
	.set _Z6kernelI4downiLj256ELj16ELj100EEvPKT0_PS1_.has_indirect_call, 0
	.section	.AMDGPU.csdata,"",@progbits
; Kernel info:
; codeLenInByte = 292
; TotalNumSgprs: 11
; NumVgprs: 23
; ScratchSize: 0
; MemoryBound: 0
; FloatMode: 240
; IeeeMode: 1
; LDSByteSize: 1024 bytes/workgroup (compile time only)
; SGPRBlocks: 1
; VGPRBlocks: 5
; NumSGPRsForWavesPerEU: 11
; NumVGPRsForWavesPerEU: 23
; Occupancy: 10
; WaveLimiterHint : 0
; COMPUTE_PGM_RSRC2:SCRATCH_EN: 0
; COMPUTE_PGM_RSRC2:USER_SGPR: 6
; COMPUTE_PGM_RSRC2:TRAP_HANDLER: 0
; COMPUTE_PGM_RSRC2:TGID_X_EN: 1
; COMPUTE_PGM_RSRC2:TGID_Y_EN: 0
; COMPUTE_PGM_RSRC2:TGID_Z_EN: 0
; COMPUTE_PGM_RSRC2:TIDIG_COMP_CNT: 0
	.section	.text._Z6kernelI4downiLj256ELj32ELj100EEvPKT0_PS1_,"axG",@progbits,_Z6kernelI4downiLj256ELj32ELj100EEvPKT0_PS1_,comdat
	.protected	_Z6kernelI4downiLj256ELj32ELj100EEvPKT0_PS1_ ; -- Begin function _Z6kernelI4downiLj256ELj32ELj100EEvPKT0_PS1_
	.globl	_Z6kernelI4downiLj256ELj32ELj100EEvPKT0_PS1_
	.p2align	8
	.type	_Z6kernelI4downiLj256ELj32ELj100EEvPKT0_PS1_,@function
_Z6kernelI4downiLj256ELj32ELj100EEvPKT0_PS1_: ; @_Z6kernelI4downiLj256ELj32ELj100EEvPKT0_PS1_
; %bb.0:
	s_load_dwordx4 s[0:3], s[4:5], 0x0
	v_lshlrev_b32_e32 v1, 5, v0
	v_lshl_or_b32 v1, s6, 13, v1
	v_mov_b32_e32 v2, 0
	v_lshlrev_b64 v[37:38], 2, v[1:2]
	s_waitcnt lgkmcnt(0)
	v_mov_b32_e32 v1, s1
	v_add_co_u32_e32 v33, vcc, s0, v37
	v_addc_co_u32_e32 v34, vcc, v1, v38, vcc
	global_load_dwordx4 v[5:8], v[33:34], off
	global_load_dwordx4 v[1:4], v[33:34], off offset:16
	global_load_dwordx4 v[29:32], v[33:34], off offset:32
	;; [unrolled: 1-line block ×7, first 2 shown]
	s_movk_i32 s0, 0xff
	v_lshlrev_b32_e32 v34, 2, v0
	v_cmp_gt_u32_e32 vcc, s0, v0
	s_movk_i32 s4, 0x64
.LBB61_1:                               ; =>This Inner Loop Header: Depth=1
	s_waitcnt vmcnt(7)
	v_mov_b32_e32 v33, v6
	v_mov_b32_e32 v6, v7
	v_mov_b32_e32 v7, v8
	s_waitcnt vmcnt(6)
	v_mov_b32_e32 v8, v1
	v_mov_b32_e32 v1, v2
	v_mov_b32_e32 v2, v3
	v_mov_b32_e32 v3, v4
	s_waitcnt vmcnt(5)
	v_mov_b32_e32 v4, v29
	;; [unrolled: 5-line block ×7, first 2 shown]
	v_mov_b32_e32 v9, v10
	v_mov_b32_e32 v10, v11
	;; [unrolled: 1-line block ×3, first 2 shown]
	ds_write_b32 v34, v5
	s_waitcnt lgkmcnt(0)
	s_barrier
	s_and_saveexec_b64 s[0:1], vcc
; %bb.2:                                ;   in Loop: Header=BB61_1 Depth=1
	ds_read_b32 v12, v34 offset:4
; %bb.3:                                ;   in Loop: Header=BB61_1 Depth=1
	s_or_b64 exec, exec, s[0:1]
	s_add_i32 s4, s4, -1
	s_cmp_lg_u32 s4, 0
	s_waitcnt lgkmcnt(0)
	s_barrier
	s_cbranch_scc0 .LBB61_5
; %bb.4:                                ;   in Loop: Header=BB61_1 Depth=1
	v_mov_b32_e32 v5, v33
	s_branch .LBB61_1
.LBB61_5:
	v_mov_b32_e32 v0, s3
	v_add_co_u32_e32 v5, vcc, s2, v37
	v_mov_b32_e32 v34, v6
	v_mov_b32_e32 v35, v7
	;; [unrolled: 1-line block ×3, first 2 shown]
	v_addc_co_u32_e32 v6, vcc, v0, v38, vcc
	global_store_dwordx4 v[5:6], v[33:36], off
	global_store_dwordx4 v[5:6], v[1:4], off offset:16
	global_store_dwordx4 v[5:6], v[29:32], off offset:32
	;; [unrolled: 1-line block ×7, first 2 shown]
	s_endpgm
	.section	.rodata,"a",@progbits
	.p2align	6, 0x0
	.amdhsa_kernel _Z6kernelI4downiLj256ELj32ELj100EEvPKT0_PS1_
		.amdhsa_group_segment_fixed_size 1024
		.amdhsa_private_segment_fixed_size 0
		.amdhsa_kernarg_size 16
		.amdhsa_user_sgpr_count 6
		.amdhsa_user_sgpr_private_segment_buffer 1
		.amdhsa_user_sgpr_dispatch_ptr 0
		.amdhsa_user_sgpr_queue_ptr 0
		.amdhsa_user_sgpr_kernarg_segment_ptr 1
		.amdhsa_user_sgpr_dispatch_id 0
		.amdhsa_user_sgpr_flat_scratch_init 0
		.amdhsa_user_sgpr_private_segment_size 0
		.amdhsa_uses_dynamic_stack 0
		.amdhsa_system_sgpr_private_segment_wavefront_offset 0
		.amdhsa_system_sgpr_workgroup_id_x 1
		.amdhsa_system_sgpr_workgroup_id_y 0
		.amdhsa_system_sgpr_workgroup_id_z 0
		.amdhsa_system_sgpr_workgroup_info 0
		.amdhsa_system_vgpr_workitem_id 0
		.amdhsa_next_free_vgpr 39
		.amdhsa_next_free_sgpr 7
		.amdhsa_reserve_vcc 1
		.amdhsa_reserve_flat_scratch 0
		.amdhsa_float_round_mode_32 0
		.amdhsa_float_round_mode_16_64 0
		.amdhsa_float_denorm_mode_32 3
		.amdhsa_float_denorm_mode_16_64 3
		.amdhsa_dx10_clamp 1
		.amdhsa_ieee_mode 1
		.amdhsa_fp16_overflow 0
		.amdhsa_exception_fp_ieee_invalid_op 0
		.amdhsa_exception_fp_denorm_src 0
		.amdhsa_exception_fp_ieee_div_zero 0
		.amdhsa_exception_fp_ieee_overflow 0
		.amdhsa_exception_fp_ieee_underflow 0
		.amdhsa_exception_fp_ieee_inexact 0
		.amdhsa_exception_int_div_zero 0
	.end_amdhsa_kernel
	.section	.text._Z6kernelI4downiLj256ELj32ELj100EEvPKT0_PS1_,"axG",@progbits,_Z6kernelI4downiLj256ELj32ELj100EEvPKT0_PS1_,comdat
.Lfunc_end61:
	.size	_Z6kernelI4downiLj256ELj32ELj100EEvPKT0_PS1_, .Lfunc_end61-_Z6kernelI4downiLj256ELj32ELj100EEvPKT0_PS1_
                                        ; -- End function
	.set _Z6kernelI4downiLj256ELj32ELj100EEvPKT0_PS1_.num_vgpr, 39
	.set _Z6kernelI4downiLj256ELj32ELj100EEvPKT0_PS1_.num_agpr, 0
	.set _Z6kernelI4downiLj256ELj32ELj100EEvPKT0_PS1_.numbered_sgpr, 7
	.set _Z6kernelI4downiLj256ELj32ELj100EEvPKT0_PS1_.num_named_barrier, 0
	.set _Z6kernelI4downiLj256ELj32ELj100EEvPKT0_PS1_.private_seg_size, 0
	.set _Z6kernelI4downiLj256ELj32ELj100EEvPKT0_PS1_.uses_vcc, 1
	.set _Z6kernelI4downiLj256ELj32ELj100EEvPKT0_PS1_.uses_flat_scratch, 0
	.set _Z6kernelI4downiLj256ELj32ELj100EEvPKT0_PS1_.has_dyn_sized_stack, 0
	.set _Z6kernelI4downiLj256ELj32ELj100EEvPKT0_PS1_.has_recursion, 0
	.set _Z6kernelI4downiLj256ELj32ELj100EEvPKT0_PS1_.has_indirect_call, 0
	.section	.AMDGPU.csdata,"",@progbits
; Kernel info:
; codeLenInByte = 436
; TotalNumSgprs: 11
; NumVgprs: 39
; ScratchSize: 0
; MemoryBound: 1
; FloatMode: 240
; IeeeMode: 1
; LDSByteSize: 1024 bytes/workgroup (compile time only)
; SGPRBlocks: 1
; VGPRBlocks: 9
; NumSGPRsForWavesPerEU: 11
; NumVGPRsForWavesPerEU: 39
; Occupancy: 6
; WaveLimiterHint : 0
; COMPUTE_PGM_RSRC2:SCRATCH_EN: 0
; COMPUTE_PGM_RSRC2:USER_SGPR: 6
; COMPUTE_PGM_RSRC2:TRAP_HANDLER: 0
; COMPUTE_PGM_RSRC2:TGID_X_EN: 1
; COMPUTE_PGM_RSRC2:TGID_Y_EN: 0
; COMPUTE_PGM_RSRC2:TGID_Z_EN: 0
; COMPUTE_PGM_RSRC2:TIDIG_COMP_CNT: 0
	.section	.text._Z6kernelI4downfLj256ELj1ELj100EEvPKT0_PS1_,"axG",@progbits,_Z6kernelI4downfLj256ELj1ELj100EEvPKT0_PS1_,comdat
	.protected	_Z6kernelI4downfLj256ELj1ELj100EEvPKT0_PS1_ ; -- Begin function _Z6kernelI4downfLj256ELj1ELj100EEvPKT0_PS1_
	.globl	_Z6kernelI4downfLj256ELj1ELj100EEvPKT0_PS1_
	.p2align	8
	.type	_Z6kernelI4downfLj256ELj1ELj100EEvPKT0_PS1_,@function
_Z6kernelI4downfLj256ELj1ELj100EEvPKT0_PS1_: ; @_Z6kernelI4downfLj256ELj1ELj100EEvPKT0_PS1_
; %bb.0:
	s_load_dwordx4 s[0:3], s[4:5], 0x0
	v_lshl_or_b32 v1, s6, 8, v0
	v_mov_b32_e32 v2, 0
	v_lshlrev_b64 v[1:2], 2, v[1:2]
	s_movk_i32 s4, 0x64
	s_waitcnt lgkmcnt(0)
	v_mov_b32_e32 v4, s1
	v_add_co_u32_e32 v3, vcc, s0, v1
	v_addc_co_u32_e32 v4, vcc, v4, v2, vcc
	global_load_dword v3, v[3:4], off
	s_movk_i32 s0, 0xff
	v_lshlrev_b32_e32 v4, 2, v0
	v_cmp_gt_u32_e32 vcc, s0, v0
	s_branch .LBB62_2
.LBB62_1:                               ;   in Loop: Header=BB62_2 Depth=1
	s_or_b64 exec, exec, s[0:1]
	s_add_i32 s4, s4, -1
	s_cmp_lg_u32 s4, 0
	s_waitcnt lgkmcnt(0)
	s_barrier
	s_cbranch_scc0 .LBB62_4
.LBB62_2:                               ; =>This Inner Loop Header: Depth=1
	s_waitcnt vmcnt(0)
	ds_write_b32 v4, v3
	s_waitcnt lgkmcnt(0)
	s_barrier
	s_and_saveexec_b64 s[0:1], vcc
	s_cbranch_execz .LBB62_1
; %bb.3:                                ;   in Loop: Header=BB62_2 Depth=1
	ds_read_b32 v3, v4 offset:4
	s_branch .LBB62_1
.LBB62_4:
	v_mov_b32_e32 v4, s3
	v_add_co_u32_e32 v0, vcc, s2, v1
	v_addc_co_u32_e32 v1, vcc, v4, v2, vcc
	global_store_dword v[0:1], v3, off
	s_endpgm
	.section	.rodata,"a",@progbits
	.p2align	6, 0x0
	.amdhsa_kernel _Z6kernelI4downfLj256ELj1ELj100EEvPKT0_PS1_
		.amdhsa_group_segment_fixed_size 1024
		.amdhsa_private_segment_fixed_size 0
		.amdhsa_kernarg_size 16
		.amdhsa_user_sgpr_count 6
		.amdhsa_user_sgpr_private_segment_buffer 1
		.amdhsa_user_sgpr_dispatch_ptr 0
		.amdhsa_user_sgpr_queue_ptr 0
		.amdhsa_user_sgpr_kernarg_segment_ptr 1
		.amdhsa_user_sgpr_dispatch_id 0
		.amdhsa_user_sgpr_flat_scratch_init 0
		.amdhsa_user_sgpr_private_segment_size 0
		.amdhsa_uses_dynamic_stack 0
		.amdhsa_system_sgpr_private_segment_wavefront_offset 0
		.amdhsa_system_sgpr_workgroup_id_x 1
		.amdhsa_system_sgpr_workgroup_id_y 0
		.amdhsa_system_sgpr_workgroup_id_z 0
		.amdhsa_system_sgpr_workgroup_info 0
		.amdhsa_system_vgpr_workitem_id 0
		.amdhsa_next_free_vgpr 5
		.amdhsa_next_free_sgpr 7
		.amdhsa_reserve_vcc 1
		.amdhsa_reserve_flat_scratch 0
		.amdhsa_float_round_mode_32 0
		.amdhsa_float_round_mode_16_64 0
		.amdhsa_float_denorm_mode_32 3
		.amdhsa_float_denorm_mode_16_64 3
		.amdhsa_dx10_clamp 1
		.amdhsa_ieee_mode 1
		.amdhsa_fp16_overflow 0
		.amdhsa_exception_fp_ieee_invalid_op 0
		.amdhsa_exception_fp_denorm_src 0
		.amdhsa_exception_fp_ieee_div_zero 0
		.amdhsa_exception_fp_ieee_overflow 0
		.amdhsa_exception_fp_ieee_underflow 0
		.amdhsa_exception_fp_ieee_inexact 0
		.amdhsa_exception_int_div_zero 0
	.end_amdhsa_kernel
	.section	.text._Z6kernelI4downfLj256ELj1ELj100EEvPKT0_PS1_,"axG",@progbits,_Z6kernelI4downfLj256ELj1ELj100EEvPKT0_PS1_,comdat
.Lfunc_end62:
	.size	_Z6kernelI4downfLj256ELj1ELj100EEvPKT0_PS1_, .Lfunc_end62-_Z6kernelI4downfLj256ELj1ELj100EEvPKT0_PS1_
                                        ; -- End function
	.set _Z6kernelI4downfLj256ELj1ELj100EEvPKT0_PS1_.num_vgpr, 5
	.set _Z6kernelI4downfLj256ELj1ELj100EEvPKT0_PS1_.num_agpr, 0
	.set _Z6kernelI4downfLj256ELj1ELj100EEvPKT0_PS1_.numbered_sgpr, 7
	.set _Z6kernelI4downfLj256ELj1ELj100EEvPKT0_PS1_.num_named_barrier, 0
	.set _Z6kernelI4downfLj256ELj1ELj100EEvPKT0_PS1_.private_seg_size, 0
	.set _Z6kernelI4downfLj256ELj1ELj100EEvPKT0_PS1_.uses_vcc, 1
	.set _Z6kernelI4downfLj256ELj1ELj100EEvPKT0_PS1_.uses_flat_scratch, 0
	.set _Z6kernelI4downfLj256ELj1ELj100EEvPKT0_PS1_.has_dyn_sized_stack, 0
	.set _Z6kernelI4downfLj256ELj1ELj100EEvPKT0_PS1_.has_recursion, 0
	.set _Z6kernelI4downfLj256ELj1ELj100EEvPKT0_PS1_.has_indirect_call, 0
	.section	.AMDGPU.csdata,"",@progbits
; Kernel info:
; codeLenInByte = 160
; TotalNumSgprs: 11
; NumVgprs: 5
; ScratchSize: 0
; MemoryBound: 0
; FloatMode: 240
; IeeeMode: 1
; LDSByteSize: 1024 bytes/workgroup (compile time only)
; SGPRBlocks: 1
; VGPRBlocks: 1
; NumSGPRsForWavesPerEU: 11
; NumVGPRsForWavesPerEU: 5
; Occupancy: 10
; WaveLimiterHint : 0
; COMPUTE_PGM_RSRC2:SCRATCH_EN: 0
; COMPUTE_PGM_RSRC2:USER_SGPR: 6
; COMPUTE_PGM_RSRC2:TRAP_HANDLER: 0
; COMPUTE_PGM_RSRC2:TGID_X_EN: 1
; COMPUTE_PGM_RSRC2:TGID_Y_EN: 0
; COMPUTE_PGM_RSRC2:TGID_Z_EN: 0
; COMPUTE_PGM_RSRC2:TIDIG_COMP_CNT: 0
	.section	.text._Z6kernelI4downfLj256ELj3ELj100EEvPKT0_PS1_,"axG",@progbits,_Z6kernelI4downfLj256ELj3ELj100EEvPKT0_PS1_,comdat
	.protected	_Z6kernelI4downfLj256ELj3ELj100EEvPKT0_PS1_ ; -- Begin function _Z6kernelI4downfLj256ELj3ELj100EEvPKT0_PS1_
	.globl	_Z6kernelI4downfLj256ELj3ELj100EEvPKT0_PS1_
	.p2align	8
	.type	_Z6kernelI4downfLj256ELj3ELj100EEvPKT0_PS1_,@function
_Z6kernelI4downfLj256ELj3ELj100EEvPKT0_PS1_: ; @_Z6kernelI4downfLj256ELj3ELj100EEvPKT0_PS1_
; %bb.0:
	s_load_dwordx4 s[0:3], s[4:5], 0x0
	v_lshl_or_b32 v1, s6, 8, v0
	v_lshl_add_u32 v5, v1, 1, v1
	v_mov_b32_e32 v6, 0
	v_lshlrev_b64 v[1:2], 2, v[5:6]
	s_waitcnt lgkmcnt(0)
	v_mov_b32_e32 v3, s1
	v_add_co_u32_e32 v11, vcc, s0, v1
	v_addc_co_u32_e32 v12, vcc, v3, v2, vcc
	v_add_u32_e32 v3, 1, v5
	v_mov_b32_e32 v4, v6
	v_lshlrev_b64 v[3:4], 2, v[3:4]
	v_add_u32_e32 v5, 2, v5
	v_mov_b32_e32 v7, s1
	v_add_co_u32_e32 v13, vcc, s0, v3
	v_lshlrev_b64 v[5:6], 2, v[5:6]
	v_addc_co_u32_e32 v14, vcc, v7, v4, vcc
	v_add_co_u32_e32 v15, vcc, s0, v5
	v_addc_co_u32_e32 v16, vcc, v7, v6, vcc
	global_load_dword v10, v[11:12], off
	global_load_dword v7, v[15:16], off
	;; [unrolled: 1-line block ×3, first 2 shown]
	s_movk_i32 s0, 0xff
	v_lshlrev_b32_e32 v9, 2, v0
	v_cmp_gt_u32_e32 vcc, s0, v0
	s_movk_i32 s4, 0x64
	s_waitcnt vmcnt(1)
	v_mov_b32_e32 v0, v7
.LBB63_1:                               ; =>This Inner Loop Header: Depth=1
	ds_write_b32 v9, v10
	s_waitcnt vmcnt(0) lgkmcnt(0)
	s_barrier
	s_and_saveexec_b64 s[0:1], vcc
; %bb.2:                                ;   in Loop: Header=BB63_1 Depth=1
	ds_read_b32 v0, v9 offset:4
; %bb.3:                                ;   in Loop: Header=BB63_1 Depth=1
	s_or_b64 exec, exec, s[0:1]
	s_add_i32 s4, s4, -1
	s_cmp_lg_u32 s4, 0
	s_waitcnt lgkmcnt(0)
	s_barrier
	s_cbranch_scc0 .LBB63_5
; %bb.4:                                ;   in Loop: Header=BB63_1 Depth=1
	v_mov_b32_e32 v10, v8
	v_mov_b32_e32 v8, v7
	v_mov_b32_e32 v7, v0
	s_branch .LBB63_1
.LBB63_5:
	v_mov_b32_e32 v9, s3
	v_add_co_u32_e32 v1, vcc, s2, v1
	v_addc_co_u32_e32 v2, vcc, v9, v2, vcc
	global_store_dword v[1:2], v8, off
	v_mov_b32_e32 v2, s3
	v_add_co_u32_e32 v1, vcc, s2, v3
	v_addc_co_u32_e32 v2, vcc, v2, v4, vcc
	global_store_dword v[1:2], v7, off
	;; [unrolled: 4-line block ×3, first 2 shown]
	s_endpgm
	.section	.rodata,"a",@progbits
	.p2align	6, 0x0
	.amdhsa_kernel _Z6kernelI4downfLj256ELj3ELj100EEvPKT0_PS1_
		.amdhsa_group_segment_fixed_size 1024
		.amdhsa_private_segment_fixed_size 0
		.amdhsa_kernarg_size 16
		.amdhsa_user_sgpr_count 6
		.amdhsa_user_sgpr_private_segment_buffer 1
		.amdhsa_user_sgpr_dispatch_ptr 0
		.amdhsa_user_sgpr_queue_ptr 0
		.amdhsa_user_sgpr_kernarg_segment_ptr 1
		.amdhsa_user_sgpr_dispatch_id 0
		.amdhsa_user_sgpr_flat_scratch_init 0
		.amdhsa_user_sgpr_private_segment_size 0
		.amdhsa_uses_dynamic_stack 0
		.amdhsa_system_sgpr_private_segment_wavefront_offset 0
		.amdhsa_system_sgpr_workgroup_id_x 1
		.amdhsa_system_sgpr_workgroup_id_y 0
		.amdhsa_system_sgpr_workgroup_id_z 0
		.amdhsa_system_sgpr_workgroup_info 0
		.amdhsa_system_vgpr_workitem_id 0
		.amdhsa_next_free_vgpr 17
		.amdhsa_next_free_sgpr 7
		.amdhsa_reserve_vcc 1
		.amdhsa_reserve_flat_scratch 0
		.amdhsa_float_round_mode_32 0
		.amdhsa_float_round_mode_16_64 0
		.amdhsa_float_denorm_mode_32 3
		.amdhsa_float_denorm_mode_16_64 3
		.amdhsa_dx10_clamp 1
		.amdhsa_ieee_mode 1
		.amdhsa_fp16_overflow 0
		.amdhsa_exception_fp_ieee_invalid_op 0
		.amdhsa_exception_fp_denorm_src 0
		.amdhsa_exception_fp_ieee_div_zero 0
		.amdhsa_exception_fp_ieee_overflow 0
		.amdhsa_exception_fp_ieee_underflow 0
		.amdhsa_exception_fp_ieee_inexact 0
		.amdhsa_exception_int_div_zero 0
	.end_amdhsa_kernel
	.section	.text._Z6kernelI4downfLj256ELj3ELj100EEvPKT0_PS1_,"axG",@progbits,_Z6kernelI4downfLj256ELj3ELj100EEvPKT0_PS1_,comdat
.Lfunc_end63:
	.size	_Z6kernelI4downfLj256ELj3ELj100EEvPKT0_PS1_, .Lfunc_end63-_Z6kernelI4downfLj256ELj3ELj100EEvPKT0_PS1_
                                        ; -- End function
	.set _Z6kernelI4downfLj256ELj3ELj100EEvPKT0_PS1_.num_vgpr, 17
	.set _Z6kernelI4downfLj256ELj3ELj100EEvPKT0_PS1_.num_agpr, 0
	.set _Z6kernelI4downfLj256ELj3ELj100EEvPKT0_PS1_.numbered_sgpr, 7
	.set _Z6kernelI4downfLj256ELj3ELj100EEvPKT0_PS1_.num_named_barrier, 0
	.set _Z6kernelI4downfLj256ELj3ELj100EEvPKT0_PS1_.private_seg_size, 0
	.set _Z6kernelI4downfLj256ELj3ELj100EEvPKT0_PS1_.uses_vcc, 1
	.set _Z6kernelI4downfLj256ELj3ELj100EEvPKT0_PS1_.uses_flat_scratch, 0
	.set _Z6kernelI4downfLj256ELj3ELj100EEvPKT0_PS1_.has_dyn_sized_stack, 0
	.set _Z6kernelI4downfLj256ELj3ELj100EEvPKT0_PS1_.has_recursion, 0
	.set _Z6kernelI4downfLj256ELj3ELj100EEvPKT0_PS1_.has_indirect_call, 0
	.section	.AMDGPU.csdata,"",@progbits
; Kernel info:
; codeLenInByte = 280
; TotalNumSgprs: 11
; NumVgprs: 17
; ScratchSize: 0
; MemoryBound: 0
; FloatMode: 240
; IeeeMode: 1
; LDSByteSize: 1024 bytes/workgroup (compile time only)
; SGPRBlocks: 1
; VGPRBlocks: 4
; NumSGPRsForWavesPerEU: 11
; NumVGPRsForWavesPerEU: 17
; Occupancy: 10
; WaveLimiterHint : 0
; COMPUTE_PGM_RSRC2:SCRATCH_EN: 0
; COMPUTE_PGM_RSRC2:USER_SGPR: 6
; COMPUTE_PGM_RSRC2:TRAP_HANDLER: 0
; COMPUTE_PGM_RSRC2:TGID_X_EN: 1
; COMPUTE_PGM_RSRC2:TGID_Y_EN: 0
; COMPUTE_PGM_RSRC2:TGID_Z_EN: 0
; COMPUTE_PGM_RSRC2:TIDIG_COMP_CNT: 0
	.section	.text._Z6kernelI4downfLj256ELj4ELj100EEvPKT0_PS1_,"axG",@progbits,_Z6kernelI4downfLj256ELj4ELj100EEvPKT0_PS1_,comdat
	.protected	_Z6kernelI4downfLj256ELj4ELj100EEvPKT0_PS1_ ; -- Begin function _Z6kernelI4downfLj256ELj4ELj100EEvPKT0_PS1_
	.globl	_Z6kernelI4downfLj256ELj4ELj100EEvPKT0_PS1_
	.p2align	8
	.type	_Z6kernelI4downfLj256ELj4ELj100EEvPKT0_PS1_,@function
_Z6kernelI4downfLj256ELj4ELj100EEvPKT0_PS1_: ; @_Z6kernelI4downfLj256ELj4ELj100EEvPKT0_PS1_
; %bb.0:
	s_load_dwordx4 s[0:3], s[4:5], 0x0
	v_lshlrev_b32_e32 v8, 2, v0
	v_lshl_or_b32 v1, s6, 10, v8
	v_mov_b32_e32 v2, 0
	v_lshlrev_b64 v[6:7], 2, v[1:2]
	s_waitcnt lgkmcnt(0)
	v_mov_b32_e32 v2, s1
	v_add_co_u32_e32 v1, vcc, s0, v6
	v_addc_co_u32_e32 v2, vcc, v2, v7, vcc
	global_load_dwordx4 v[1:4], v[1:2], off
	s_movk_i32 s0, 0xff
	v_cmp_gt_u32_e32 vcc, s0, v0
	s_movk_i32 s4, 0x64
.LBB64_1:                               ; =>This Inner Loop Header: Depth=1
	s_waitcnt vmcnt(0)
	v_mov_b32_e32 v5, v4
	ds_write_b32 v8, v1
	s_waitcnt lgkmcnt(0)
	s_barrier
	s_and_saveexec_b64 s[0:1], vcc
; %bb.2:                                ;   in Loop: Header=BB64_1 Depth=1
	ds_read_b32 v5, v8 offset:4
; %bb.3:                                ;   in Loop: Header=BB64_1 Depth=1
	s_or_b64 exec, exec, s[0:1]
	s_add_i32 s4, s4, -1
	s_cmp_lg_u32 s4, 0
	s_waitcnt lgkmcnt(0)
	s_barrier
	s_cbranch_scc0 .LBB64_5
; %bb.4:                                ;   in Loop: Header=BB64_1 Depth=1
	v_mov_b32_e32 v1, v2
	v_mov_b32_e32 v2, v3
	;; [unrolled: 1-line block ×4, first 2 shown]
	s_branch .LBB64_1
.LBB64_5:
	v_mov_b32_e32 v1, s3
	v_add_co_u32_e32 v0, vcc, s2, v6
	v_addc_co_u32_e32 v1, vcc, v1, v7, vcc
	global_store_dwordx4 v[0:1], v[2:5], off
	s_endpgm
	.section	.rodata,"a",@progbits
	.p2align	6, 0x0
	.amdhsa_kernel _Z6kernelI4downfLj256ELj4ELj100EEvPKT0_PS1_
		.amdhsa_group_segment_fixed_size 1024
		.amdhsa_private_segment_fixed_size 0
		.amdhsa_kernarg_size 16
		.amdhsa_user_sgpr_count 6
		.amdhsa_user_sgpr_private_segment_buffer 1
		.amdhsa_user_sgpr_dispatch_ptr 0
		.amdhsa_user_sgpr_queue_ptr 0
		.amdhsa_user_sgpr_kernarg_segment_ptr 1
		.amdhsa_user_sgpr_dispatch_id 0
		.amdhsa_user_sgpr_flat_scratch_init 0
		.amdhsa_user_sgpr_private_segment_size 0
		.amdhsa_uses_dynamic_stack 0
		.amdhsa_system_sgpr_private_segment_wavefront_offset 0
		.amdhsa_system_sgpr_workgroup_id_x 1
		.amdhsa_system_sgpr_workgroup_id_y 0
		.amdhsa_system_sgpr_workgroup_id_z 0
		.amdhsa_system_sgpr_workgroup_info 0
		.amdhsa_system_vgpr_workitem_id 0
		.amdhsa_next_free_vgpr 9
		.amdhsa_next_free_sgpr 7
		.amdhsa_reserve_vcc 1
		.amdhsa_reserve_flat_scratch 0
		.amdhsa_float_round_mode_32 0
		.amdhsa_float_round_mode_16_64 0
		.amdhsa_float_denorm_mode_32 3
		.amdhsa_float_denorm_mode_16_64 3
		.amdhsa_dx10_clamp 1
		.amdhsa_ieee_mode 1
		.amdhsa_fp16_overflow 0
		.amdhsa_exception_fp_ieee_invalid_op 0
		.amdhsa_exception_fp_denorm_src 0
		.amdhsa_exception_fp_ieee_div_zero 0
		.amdhsa_exception_fp_ieee_overflow 0
		.amdhsa_exception_fp_ieee_underflow 0
		.amdhsa_exception_fp_ieee_inexact 0
		.amdhsa_exception_int_div_zero 0
	.end_amdhsa_kernel
	.section	.text._Z6kernelI4downfLj256ELj4ELj100EEvPKT0_PS1_,"axG",@progbits,_Z6kernelI4downfLj256ELj4ELj100EEvPKT0_PS1_,comdat
.Lfunc_end64:
	.size	_Z6kernelI4downfLj256ELj4ELj100EEvPKT0_PS1_, .Lfunc_end64-_Z6kernelI4downfLj256ELj4ELj100EEvPKT0_PS1_
                                        ; -- End function
	.set _Z6kernelI4downfLj256ELj4ELj100EEvPKT0_PS1_.num_vgpr, 9
	.set _Z6kernelI4downfLj256ELj4ELj100EEvPKT0_PS1_.num_agpr, 0
	.set _Z6kernelI4downfLj256ELj4ELj100EEvPKT0_PS1_.numbered_sgpr, 7
	.set _Z6kernelI4downfLj256ELj4ELj100EEvPKT0_PS1_.num_named_barrier, 0
	.set _Z6kernelI4downfLj256ELj4ELj100EEvPKT0_PS1_.private_seg_size, 0
	.set _Z6kernelI4downfLj256ELj4ELj100EEvPKT0_PS1_.uses_vcc, 1
	.set _Z6kernelI4downfLj256ELj4ELj100EEvPKT0_PS1_.uses_flat_scratch, 0
	.set _Z6kernelI4downfLj256ELj4ELj100EEvPKT0_PS1_.has_dyn_sized_stack, 0
	.set _Z6kernelI4downfLj256ELj4ELj100EEvPKT0_PS1_.has_recursion, 0
	.set _Z6kernelI4downfLj256ELj4ELj100EEvPKT0_PS1_.has_indirect_call, 0
	.section	.AMDGPU.csdata,"",@progbits
; Kernel info:
; codeLenInByte = 172
; TotalNumSgprs: 11
; NumVgprs: 9
; ScratchSize: 0
; MemoryBound: 0
; FloatMode: 240
; IeeeMode: 1
; LDSByteSize: 1024 bytes/workgroup (compile time only)
; SGPRBlocks: 1
; VGPRBlocks: 2
; NumSGPRsForWavesPerEU: 11
; NumVGPRsForWavesPerEU: 9
; Occupancy: 10
; WaveLimiterHint : 0
; COMPUTE_PGM_RSRC2:SCRATCH_EN: 0
; COMPUTE_PGM_RSRC2:USER_SGPR: 6
; COMPUTE_PGM_RSRC2:TRAP_HANDLER: 0
; COMPUTE_PGM_RSRC2:TGID_X_EN: 1
; COMPUTE_PGM_RSRC2:TGID_Y_EN: 0
; COMPUTE_PGM_RSRC2:TGID_Z_EN: 0
; COMPUTE_PGM_RSRC2:TIDIG_COMP_CNT: 0
	.section	.text._Z6kernelI4downfLj256ELj8ELj100EEvPKT0_PS1_,"axG",@progbits,_Z6kernelI4downfLj256ELj8ELj100EEvPKT0_PS1_,comdat
	.protected	_Z6kernelI4downfLj256ELj8ELj100EEvPKT0_PS1_ ; -- Begin function _Z6kernelI4downfLj256ELj8ELj100EEvPKT0_PS1_
	.globl	_Z6kernelI4downfLj256ELj8ELj100EEvPKT0_PS1_
	.p2align	8
	.type	_Z6kernelI4downfLj256ELj8ELj100EEvPKT0_PS1_,@function
_Z6kernelI4downfLj256ELj8ELj100EEvPKT0_PS1_: ; @_Z6kernelI4downfLj256ELj8ELj100EEvPKT0_PS1_
; %bb.0:
	s_load_dwordx4 s[0:3], s[4:5], 0x0
	v_lshlrev_b32_e32 v1, 3, v0
	v_lshl_or_b32 v1, s6, 11, v1
	v_mov_b32_e32 v2, 0
	v_lshlrev_b64 v[10:11], 2, v[1:2]
	s_waitcnt lgkmcnt(0)
	v_mov_b32_e32 v1, s1
	v_add_co_u32_e32 v12, vcc, s0, v10
	v_addc_co_u32_e32 v13, vcc, v1, v11, vcc
	global_load_dwordx4 v[1:4], v[12:13], off
	global_load_dwordx4 v[5:8], v[12:13], off offset:16
	s_movk_i32 s0, 0xff
	v_lshlrev_b32_e32 v12, 2, v0
	v_cmp_gt_u32_e32 vcc, s0, v0
	s_movk_i32 s4, 0x64
.LBB65_1:                               ; =>This Inner Loop Header: Depth=1
	s_waitcnt vmcnt(0)
	v_mov_b32_e32 v9, v8
	ds_write_b32 v12, v1
	s_waitcnt lgkmcnt(0)
	s_barrier
	s_and_saveexec_b64 s[0:1], vcc
; %bb.2:                                ;   in Loop: Header=BB65_1 Depth=1
	ds_read_b32 v9, v12 offset:4
; %bb.3:                                ;   in Loop: Header=BB65_1 Depth=1
	s_or_b64 exec, exec, s[0:1]
	s_add_i32 s4, s4, -1
	s_cmp_lg_u32 s4, 0
	s_waitcnt lgkmcnt(0)
	s_barrier
	s_cbranch_scc0 .LBB65_5
; %bb.4:                                ;   in Loop: Header=BB65_1 Depth=1
	v_mov_b32_e32 v1, v2
	v_mov_b32_e32 v2, v3
	;; [unrolled: 1-line block ×8, first 2 shown]
	s_branch .LBB65_1
.LBB65_5:
	v_mov_b32_e32 v0, s3
	v_add_co_u32_e32 v10, vcc, s2, v10
	v_addc_co_u32_e32 v11, vcc, v0, v11, vcc
	v_mov_b32_e32 v0, v2
	v_mov_b32_e32 v1, v3
	;; [unrolled: 1-line block ×4, first 2 shown]
	global_store_dwordx4 v[10:11], v[0:3], off
	global_store_dwordx4 v[10:11], v[6:9], off offset:16
	s_endpgm
	.section	.rodata,"a",@progbits
	.p2align	6, 0x0
	.amdhsa_kernel _Z6kernelI4downfLj256ELj8ELj100EEvPKT0_PS1_
		.amdhsa_group_segment_fixed_size 1024
		.amdhsa_private_segment_fixed_size 0
		.amdhsa_kernarg_size 16
		.amdhsa_user_sgpr_count 6
		.amdhsa_user_sgpr_private_segment_buffer 1
		.amdhsa_user_sgpr_dispatch_ptr 0
		.amdhsa_user_sgpr_queue_ptr 0
		.amdhsa_user_sgpr_kernarg_segment_ptr 1
		.amdhsa_user_sgpr_dispatch_id 0
		.amdhsa_user_sgpr_flat_scratch_init 0
		.amdhsa_user_sgpr_private_segment_size 0
		.amdhsa_uses_dynamic_stack 0
		.amdhsa_system_sgpr_private_segment_wavefront_offset 0
		.amdhsa_system_sgpr_workgroup_id_x 1
		.amdhsa_system_sgpr_workgroup_id_y 0
		.amdhsa_system_sgpr_workgroup_id_z 0
		.amdhsa_system_sgpr_workgroup_info 0
		.amdhsa_system_vgpr_workitem_id 0
		.amdhsa_next_free_vgpr 14
		.amdhsa_next_free_sgpr 7
		.amdhsa_reserve_vcc 1
		.amdhsa_reserve_flat_scratch 0
		.amdhsa_float_round_mode_32 0
		.amdhsa_float_round_mode_16_64 0
		.amdhsa_float_denorm_mode_32 3
		.amdhsa_float_denorm_mode_16_64 3
		.amdhsa_dx10_clamp 1
		.amdhsa_ieee_mode 1
		.amdhsa_fp16_overflow 0
		.amdhsa_exception_fp_ieee_invalid_op 0
		.amdhsa_exception_fp_denorm_src 0
		.amdhsa_exception_fp_ieee_div_zero 0
		.amdhsa_exception_fp_ieee_overflow 0
		.amdhsa_exception_fp_ieee_underflow 0
		.amdhsa_exception_fp_ieee_inexact 0
		.amdhsa_exception_int_div_zero 0
	.end_amdhsa_kernel
	.section	.text._Z6kernelI4downfLj256ELj8ELj100EEvPKT0_PS1_,"axG",@progbits,_Z6kernelI4downfLj256ELj8ELj100EEvPKT0_PS1_,comdat
.Lfunc_end65:
	.size	_Z6kernelI4downfLj256ELj8ELj100EEvPKT0_PS1_, .Lfunc_end65-_Z6kernelI4downfLj256ELj8ELj100EEvPKT0_PS1_
                                        ; -- End function
	.set _Z6kernelI4downfLj256ELj8ELj100EEvPKT0_PS1_.num_vgpr, 14
	.set _Z6kernelI4downfLj256ELj8ELj100EEvPKT0_PS1_.num_agpr, 0
	.set _Z6kernelI4downfLj256ELj8ELj100EEvPKT0_PS1_.numbered_sgpr, 7
	.set _Z6kernelI4downfLj256ELj8ELj100EEvPKT0_PS1_.num_named_barrier, 0
	.set _Z6kernelI4downfLj256ELj8ELj100EEvPKT0_PS1_.private_seg_size, 0
	.set _Z6kernelI4downfLj256ELj8ELj100EEvPKT0_PS1_.uses_vcc, 1
	.set _Z6kernelI4downfLj256ELj8ELj100EEvPKT0_PS1_.uses_flat_scratch, 0
	.set _Z6kernelI4downfLj256ELj8ELj100EEvPKT0_PS1_.has_dyn_sized_stack, 0
	.set _Z6kernelI4downfLj256ELj8ELj100EEvPKT0_PS1_.has_recursion, 0
	.set _Z6kernelI4downfLj256ELj8ELj100EEvPKT0_PS1_.has_indirect_call, 0
	.section	.AMDGPU.csdata,"",@progbits
; Kernel info:
; codeLenInByte = 224
; TotalNumSgprs: 11
; NumVgprs: 14
; ScratchSize: 0
; MemoryBound: 0
; FloatMode: 240
; IeeeMode: 1
; LDSByteSize: 1024 bytes/workgroup (compile time only)
; SGPRBlocks: 1
; VGPRBlocks: 3
; NumSGPRsForWavesPerEU: 11
; NumVGPRsForWavesPerEU: 14
; Occupancy: 10
; WaveLimiterHint : 0
; COMPUTE_PGM_RSRC2:SCRATCH_EN: 0
; COMPUTE_PGM_RSRC2:USER_SGPR: 6
; COMPUTE_PGM_RSRC2:TRAP_HANDLER: 0
; COMPUTE_PGM_RSRC2:TGID_X_EN: 1
; COMPUTE_PGM_RSRC2:TGID_Y_EN: 0
; COMPUTE_PGM_RSRC2:TGID_Z_EN: 0
; COMPUTE_PGM_RSRC2:TIDIG_COMP_CNT: 0
	.section	.text._Z6kernelI4downfLj256ELj16ELj100EEvPKT0_PS1_,"axG",@progbits,_Z6kernelI4downfLj256ELj16ELj100EEvPKT0_PS1_,comdat
	.protected	_Z6kernelI4downfLj256ELj16ELj100EEvPKT0_PS1_ ; -- Begin function _Z6kernelI4downfLj256ELj16ELj100EEvPKT0_PS1_
	.globl	_Z6kernelI4downfLj256ELj16ELj100EEvPKT0_PS1_
	.p2align	8
	.type	_Z6kernelI4downfLj256ELj16ELj100EEvPKT0_PS1_,@function
_Z6kernelI4downfLj256ELj16ELj100EEvPKT0_PS1_: ; @_Z6kernelI4downfLj256ELj16ELj100EEvPKT0_PS1_
; %bb.0:
	s_load_dwordx4 s[0:3], s[4:5], 0x0
	v_lshlrev_b32_e32 v1, 4, v0
	v_lshl_or_b32 v1, s6, 12, v1
	v_mov_b32_e32 v2, 0
	v_lshlrev_b64 v[21:22], 2, v[1:2]
	s_waitcnt lgkmcnt(0)
	v_mov_b32_e32 v1, s1
	v_add_co_u32_e32 v17, vcc, s0, v21
	v_addc_co_u32_e32 v18, vcc, v1, v22, vcc
	global_load_dwordx4 v[13:16], v[17:18], off
	global_load_dwordx4 v[9:12], v[17:18], off offset:16
	global_load_dwordx4 v[5:8], v[17:18], off offset:32
	global_load_dwordx4 v[1:4], v[17:18], off offset:48
	s_movk_i32 s0, 0xff
	v_lshlrev_b32_e32 v18, 2, v0
	v_cmp_gt_u32_e32 vcc, s0, v0
	s_movk_i32 s4, 0x64
.LBB66_1:                               ; =>This Inner Loop Header: Depth=1
	s_waitcnt vmcnt(3)
	v_mov_b32_e32 v17, v14
	v_mov_b32_e32 v14, v15
	v_mov_b32_e32 v15, v16
	s_waitcnt vmcnt(2)
	v_mov_b32_e32 v16, v9
	v_mov_b32_e32 v9, v10
	v_mov_b32_e32 v10, v11
	v_mov_b32_e32 v11, v12
	s_waitcnt vmcnt(1)
	v_mov_b32_e32 v12, v5
	;; [unrolled: 5-line block ×3, first 2 shown]
	v_mov_b32_e32 v1, v2
	v_mov_b32_e32 v2, v3
	;; [unrolled: 1-line block ×3, first 2 shown]
	ds_write_b32 v18, v13
	s_waitcnt lgkmcnt(0)
	s_barrier
	s_and_saveexec_b64 s[0:1], vcc
; %bb.2:                                ;   in Loop: Header=BB66_1 Depth=1
	ds_read_b32 v4, v18 offset:4
; %bb.3:                                ;   in Loop: Header=BB66_1 Depth=1
	s_or_b64 exec, exec, s[0:1]
	s_add_i32 s4, s4, -1
	s_cmp_lg_u32 s4, 0
	s_waitcnt lgkmcnt(0)
	s_barrier
	s_cbranch_scc0 .LBB66_5
; %bb.4:                                ;   in Loop: Header=BB66_1 Depth=1
	v_mov_b32_e32 v13, v17
	s_branch .LBB66_1
.LBB66_5:
	v_mov_b32_e32 v0, s3
	v_add_co_u32_e32 v13, vcc, s2, v21
	v_mov_b32_e32 v18, v14
	v_mov_b32_e32 v19, v15
	;; [unrolled: 1-line block ×3, first 2 shown]
	v_addc_co_u32_e32 v14, vcc, v0, v22, vcc
	global_store_dwordx4 v[13:14], v[17:20], off
	global_store_dwordx4 v[13:14], v[9:12], off offset:16
	global_store_dwordx4 v[13:14], v[5:8], off offset:32
	;; [unrolled: 1-line block ×3, first 2 shown]
	s_endpgm
	.section	.rodata,"a",@progbits
	.p2align	6, 0x0
	.amdhsa_kernel _Z6kernelI4downfLj256ELj16ELj100EEvPKT0_PS1_
		.amdhsa_group_segment_fixed_size 1024
		.amdhsa_private_segment_fixed_size 0
		.amdhsa_kernarg_size 16
		.amdhsa_user_sgpr_count 6
		.amdhsa_user_sgpr_private_segment_buffer 1
		.amdhsa_user_sgpr_dispatch_ptr 0
		.amdhsa_user_sgpr_queue_ptr 0
		.amdhsa_user_sgpr_kernarg_segment_ptr 1
		.amdhsa_user_sgpr_dispatch_id 0
		.amdhsa_user_sgpr_flat_scratch_init 0
		.amdhsa_user_sgpr_private_segment_size 0
		.amdhsa_uses_dynamic_stack 0
		.amdhsa_system_sgpr_private_segment_wavefront_offset 0
		.amdhsa_system_sgpr_workgroup_id_x 1
		.amdhsa_system_sgpr_workgroup_id_y 0
		.amdhsa_system_sgpr_workgroup_id_z 0
		.amdhsa_system_sgpr_workgroup_info 0
		.amdhsa_system_vgpr_workitem_id 0
		.amdhsa_next_free_vgpr 23
		.amdhsa_next_free_sgpr 7
		.amdhsa_reserve_vcc 1
		.amdhsa_reserve_flat_scratch 0
		.amdhsa_float_round_mode_32 0
		.amdhsa_float_round_mode_16_64 0
		.amdhsa_float_denorm_mode_32 3
		.amdhsa_float_denorm_mode_16_64 3
		.amdhsa_dx10_clamp 1
		.amdhsa_ieee_mode 1
		.amdhsa_fp16_overflow 0
		.amdhsa_exception_fp_ieee_invalid_op 0
		.amdhsa_exception_fp_denorm_src 0
		.amdhsa_exception_fp_ieee_div_zero 0
		.amdhsa_exception_fp_ieee_overflow 0
		.amdhsa_exception_fp_ieee_underflow 0
		.amdhsa_exception_fp_ieee_inexact 0
		.amdhsa_exception_int_div_zero 0
	.end_amdhsa_kernel
	.section	.text._Z6kernelI4downfLj256ELj16ELj100EEvPKT0_PS1_,"axG",@progbits,_Z6kernelI4downfLj256ELj16ELj100EEvPKT0_PS1_,comdat
.Lfunc_end66:
	.size	_Z6kernelI4downfLj256ELj16ELj100EEvPKT0_PS1_, .Lfunc_end66-_Z6kernelI4downfLj256ELj16ELj100EEvPKT0_PS1_
                                        ; -- End function
	.set _Z6kernelI4downfLj256ELj16ELj100EEvPKT0_PS1_.num_vgpr, 23
	.set _Z6kernelI4downfLj256ELj16ELj100EEvPKT0_PS1_.num_agpr, 0
	.set _Z6kernelI4downfLj256ELj16ELj100EEvPKT0_PS1_.numbered_sgpr, 7
	.set _Z6kernelI4downfLj256ELj16ELj100EEvPKT0_PS1_.num_named_barrier, 0
	.set _Z6kernelI4downfLj256ELj16ELj100EEvPKT0_PS1_.private_seg_size, 0
	.set _Z6kernelI4downfLj256ELj16ELj100EEvPKT0_PS1_.uses_vcc, 1
	.set _Z6kernelI4downfLj256ELj16ELj100EEvPKT0_PS1_.uses_flat_scratch, 0
	.set _Z6kernelI4downfLj256ELj16ELj100EEvPKT0_PS1_.has_dyn_sized_stack, 0
	.set _Z6kernelI4downfLj256ELj16ELj100EEvPKT0_PS1_.has_recursion, 0
	.set _Z6kernelI4downfLj256ELj16ELj100EEvPKT0_PS1_.has_indirect_call, 0
	.section	.AMDGPU.csdata,"",@progbits
; Kernel info:
; codeLenInByte = 292
; TotalNumSgprs: 11
; NumVgprs: 23
; ScratchSize: 0
; MemoryBound: 0
; FloatMode: 240
; IeeeMode: 1
; LDSByteSize: 1024 bytes/workgroup (compile time only)
; SGPRBlocks: 1
; VGPRBlocks: 5
; NumSGPRsForWavesPerEU: 11
; NumVGPRsForWavesPerEU: 23
; Occupancy: 10
; WaveLimiterHint : 0
; COMPUTE_PGM_RSRC2:SCRATCH_EN: 0
; COMPUTE_PGM_RSRC2:USER_SGPR: 6
; COMPUTE_PGM_RSRC2:TRAP_HANDLER: 0
; COMPUTE_PGM_RSRC2:TGID_X_EN: 1
; COMPUTE_PGM_RSRC2:TGID_Y_EN: 0
; COMPUTE_PGM_RSRC2:TGID_Z_EN: 0
; COMPUTE_PGM_RSRC2:TIDIG_COMP_CNT: 0
	.section	.text._Z6kernelI4downfLj256ELj32ELj100EEvPKT0_PS1_,"axG",@progbits,_Z6kernelI4downfLj256ELj32ELj100EEvPKT0_PS1_,comdat
	.protected	_Z6kernelI4downfLj256ELj32ELj100EEvPKT0_PS1_ ; -- Begin function _Z6kernelI4downfLj256ELj32ELj100EEvPKT0_PS1_
	.globl	_Z6kernelI4downfLj256ELj32ELj100EEvPKT0_PS1_
	.p2align	8
	.type	_Z6kernelI4downfLj256ELj32ELj100EEvPKT0_PS1_,@function
_Z6kernelI4downfLj256ELj32ELj100EEvPKT0_PS1_: ; @_Z6kernelI4downfLj256ELj32ELj100EEvPKT0_PS1_
; %bb.0:
	s_load_dwordx4 s[0:3], s[4:5], 0x0
	v_lshlrev_b32_e32 v1, 5, v0
	v_lshl_or_b32 v1, s6, 13, v1
	v_mov_b32_e32 v2, 0
	v_lshlrev_b64 v[37:38], 2, v[1:2]
	s_waitcnt lgkmcnt(0)
	v_mov_b32_e32 v1, s1
	v_add_co_u32_e32 v33, vcc, s0, v37
	v_addc_co_u32_e32 v34, vcc, v1, v38, vcc
	global_load_dwordx4 v[5:8], v[33:34], off
	global_load_dwordx4 v[1:4], v[33:34], off offset:16
	global_load_dwordx4 v[29:32], v[33:34], off offset:32
	;; [unrolled: 1-line block ×7, first 2 shown]
	s_movk_i32 s0, 0xff
	v_lshlrev_b32_e32 v34, 2, v0
	v_cmp_gt_u32_e32 vcc, s0, v0
	s_movk_i32 s4, 0x64
.LBB67_1:                               ; =>This Inner Loop Header: Depth=1
	s_waitcnt vmcnt(7)
	v_mov_b32_e32 v33, v6
	v_mov_b32_e32 v6, v7
	v_mov_b32_e32 v7, v8
	s_waitcnt vmcnt(6)
	v_mov_b32_e32 v8, v1
	v_mov_b32_e32 v1, v2
	v_mov_b32_e32 v2, v3
	v_mov_b32_e32 v3, v4
	s_waitcnt vmcnt(5)
	v_mov_b32_e32 v4, v29
	;; [unrolled: 5-line block ×7, first 2 shown]
	v_mov_b32_e32 v9, v10
	v_mov_b32_e32 v10, v11
	;; [unrolled: 1-line block ×3, first 2 shown]
	ds_write_b32 v34, v5
	s_waitcnt lgkmcnt(0)
	s_barrier
	s_and_saveexec_b64 s[0:1], vcc
; %bb.2:                                ;   in Loop: Header=BB67_1 Depth=1
	ds_read_b32 v12, v34 offset:4
; %bb.3:                                ;   in Loop: Header=BB67_1 Depth=1
	s_or_b64 exec, exec, s[0:1]
	s_add_i32 s4, s4, -1
	s_cmp_lg_u32 s4, 0
	s_waitcnt lgkmcnt(0)
	s_barrier
	s_cbranch_scc0 .LBB67_5
; %bb.4:                                ;   in Loop: Header=BB67_1 Depth=1
	v_mov_b32_e32 v5, v33
	s_branch .LBB67_1
.LBB67_5:
	v_mov_b32_e32 v0, s3
	v_add_co_u32_e32 v5, vcc, s2, v37
	v_mov_b32_e32 v34, v6
	v_mov_b32_e32 v35, v7
	;; [unrolled: 1-line block ×3, first 2 shown]
	v_addc_co_u32_e32 v6, vcc, v0, v38, vcc
	global_store_dwordx4 v[5:6], v[33:36], off
	global_store_dwordx4 v[5:6], v[1:4], off offset:16
	global_store_dwordx4 v[5:6], v[29:32], off offset:32
	;; [unrolled: 1-line block ×7, first 2 shown]
	s_endpgm
	.section	.rodata,"a",@progbits
	.p2align	6, 0x0
	.amdhsa_kernel _Z6kernelI4downfLj256ELj32ELj100EEvPKT0_PS1_
		.amdhsa_group_segment_fixed_size 1024
		.amdhsa_private_segment_fixed_size 0
		.amdhsa_kernarg_size 16
		.amdhsa_user_sgpr_count 6
		.amdhsa_user_sgpr_private_segment_buffer 1
		.amdhsa_user_sgpr_dispatch_ptr 0
		.amdhsa_user_sgpr_queue_ptr 0
		.amdhsa_user_sgpr_kernarg_segment_ptr 1
		.amdhsa_user_sgpr_dispatch_id 0
		.amdhsa_user_sgpr_flat_scratch_init 0
		.amdhsa_user_sgpr_private_segment_size 0
		.amdhsa_uses_dynamic_stack 0
		.amdhsa_system_sgpr_private_segment_wavefront_offset 0
		.amdhsa_system_sgpr_workgroup_id_x 1
		.amdhsa_system_sgpr_workgroup_id_y 0
		.amdhsa_system_sgpr_workgroup_id_z 0
		.amdhsa_system_sgpr_workgroup_info 0
		.amdhsa_system_vgpr_workitem_id 0
		.amdhsa_next_free_vgpr 39
		.amdhsa_next_free_sgpr 7
		.amdhsa_reserve_vcc 1
		.amdhsa_reserve_flat_scratch 0
		.amdhsa_float_round_mode_32 0
		.amdhsa_float_round_mode_16_64 0
		.amdhsa_float_denorm_mode_32 3
		.amdhsa_float_denorm_mode_16_64 3
		.amdhsa_dx10_clamp 1
		.amdhsa_ieee_mode 1
		.amdhsa_fp16_overflow 0
		.amdhsa_exception_fp_ieee_invalid_op 0
		.amdhsa_exception_fp_denorm_src 0
		.amdhsa_exception_fp_ieee_div_zero 0
		.amdhsa_exception_fp_ieee_overflow 0
		.amdhsa_exception_fp_ieee_underflow 0
		.amdhsa_exception_fp_ieee_inexact 0
		.amdhsa_exception_int_div_zero 0
	.end_amdhsa_kernel
	.section	.text._Z6kernelI4downfLj256ELj32ELj100EEvPKT0_PS1_,"axG",@progbits,_Z6kernelI4downfLj256ELj32ELj100EEvPKT0_PS1_,comdat
.Lfunc_end67:
	.size	_Z6kernelI4downfLj256ELj32ELj100EEvPKT0_PS1_, .Lfunc_end67-_Z6kernelI4downfLj256ELj32ELj100EEvPKT0_PS1_
                                        ; -- End function
	.set _Z6kernelI4downfLj256ELj32ELj100EEvPKT0_PS1_.num_vgpr, 39
	.set _Z6kernelI4downfLj256ELj32ELj100EEvPKT0_PS1_.num_agpr, 0
	.set _Z6kernelI4downfLj256ELj32ELj100EEvPKT0_PS1_.numbered_sgpr, 7
	.set _Z6kernelI4downfLj256ELj32ELj100EEvPKT0_PS1_.num_named_barrier, 0
	.set _Z6kernelI4downfLj256ELj32ELj100EEvPKT0_PS1_.private_seg_size, 0
	.set _Z6kernelI4downfLj256ELj32ELj100EEvPKT0_PS1_.uses_vcc, 1
	.set _Z6kernelI4downfLj256ELj32ELj100EEvPKT0_PS1_.uses_flat_scratch, 0
	.set _Z6kernelI4downfLj256ELj32ELj100EEvPKT0_PS1_.has_dyn_sized_stack, 0
	.set _Z6kernelI4downfLj256ELj32ELj100EEvPKT0_PS1_.has_recursion, 0
	.set _Z6kernelI4downfLj256ELj32ELj100EEvPKT0_PS1_.has_indirect_call, 0
	.section	.AMDGPU.csdata,"",@progbits
; Kernel info:
; codeLenInByte = 436
; TotalNumSgprs: 11
; NumVgprs: 39
; ScratchSize: 0
; MemoryBound: 1
; FloatMode: 240
; IeeeMode: 1
; LDSByteSize: 1024 bytes/workgroup (compile time only)
; SGPRBlocks: 1
; VGPRBlocks: 9
; NumSGPRsForWavesPerEU: 11
; NumVGPRsForWavesPerEU: 39
; Occupancy: 6
; WaveLimiterHint : 0
; COMPUTE_PGM_RSRC2:SCRATCH_EN: 0
; COMPUTE_PGM_RSRC2:USER_SGPR: 6
; COMPUTE_PGM_RSRC2:TRAP_HANDLER: 0
; COMPUTE_PGM_RSRC2:TGID_X_EN: 1
; COMPUTE_PGM_RSRC2:TGID_Y_EN: 0
; COMPUTE_PGM_RSRC2:TGID_Z_EN: 0
; COMPUTE_PGM_RSRC2:TIDIG_COMP_CNT: 0
	.section	.text._Z6kernelI4downdLj256ELj1ELj100EEvPKT0_PS1_,"axG",@progbits,_Z6kernelI4downdLj256ELj1ELj100EEvPKT0_PS1_,comdat
	.protected	_Z6kernelI4downdLj256ELj1ELj100EEvPKT0_PS1_ ; -- Begin function _Z6kernelI4downdLj256ELj1ELj100EEvPKT0_PS1_
	.globl	_Z6kernelI4downdLj256ELj1ELj100EEvPKT0_PS1_
	.p2align	8
	.type	_Z6kernelI4downdLj256ELj1ELj100EEvPKT0_PS1_,@function
_Z6kernelI4downdLj256ELj1ELj100EEvPKT0_PS1_: ; @_Z6kernelI4downdLj256ELj1ELj100EEvPKT0_PS1_
; %bb.0:
	s_load_dwordx4 s[0:3], s[4:5], 0x0
	v_lshl_or_b32 v1, s6, 8, v0
	v_mov_b32_e32 v2, 0
	v_lshlrev_b64 v[1:2], 3, v[1:2]
	v_lshlrev_b32_e32 v5, 3, v0
	s_waitcnt lgkmcnt(0)
	v_mov_b32_e32 v4, s1
	v_add_co_u32_e32 v3, vcc, s0, v1
	v_addc_co_u32_e32 v4, vcc, v4, v2, vcc
	global_load_dwordx2 v[3:4], v[3:4], off
	s_movk_i32 s0, 0xff
	v_cmp_gt_u32_e32 vcc, s0, v0
	s_movk_i32 s4, 0x64
	s_branch .LBB68_2
.LBB68_1:                               ;   in Loop: Header=BB68_2 Depth=1
	s_or_b64 exec, exec, s[0:1]
	s_add_i32 s4, s4, -1
	s_cmp_lg_u32 s4, 0
	s_waitcnt lgkmcnt(0)
	s_barrier
	s_cbranch_scc0 .LBB68_4
.LBB68_2:                               ; =>This Inner Loop Header: Depth=1
	s_waitcnt vmcnt(0)
	ds_write_b64 v5, v[3:4]
	s_waitcnt lgkmcnt(0)
	s_barrier
	s_and_saveexec_b64 s[0:1], vcc
	s_cbranch_execz .LBB68_1
; %bb.3:                                ;   in Loop: Header=BB68_2 Depth=1
	ds_read_b64 v[3:4], v5 offset:8
	s_branch .LBB68_1
.LBB68_4:
	v_mov_b32_e32 v5, s3
	v_add_co_u32_e32 v0, vcc, s2, v1
	v_addc_co_u32_e32 v1, vcc, v5, v2, vcc
	global_store_dwordx2 v[0:1], v[3:4], off
	s_endpgm
	.section	.rodata,"a",@progbits
	.p2align	6, 0x0
	.amdhsa_kernel _Z6kernelI4downdLj256ELj1ELj100EEvPKT0_PS1_
		.amdhsa_group_segment_fixed_size 2048
		.amdhsa_private_segment_fixed_size 0
		.amdhsa_kernarg_size 16
		.amdhsa_user_sgpr_count 6
		.amdhsa_user_sgpr_private_segment_buffer 1
		.amdhsa_user_sgpr_dispatch_ptr 0
		.amdhsa_user_sgpr_queue_ptr 0
		.amdhsa_user_sgpr_kernarg_segment_ptr 1
		.amdhsa_user_sgpr_dispatch_id 0
		.amdhsa_user_sgpr_flat_scratch_init 0
		.amdhsa_user_sgpr_private_segment_size 0
		.amdhsa_uses_dynamic_stack 0
		.amdhsa_system_sgpr_private_segment_wavefront_offset 0
		.amdhsa_system_sgpr_workgroup_id_x 1
		.amdhsa_system_sgpr_workgroup_id_y 0
		.amdhsa_system_sgpr_workgroup_id_z 0
		.amdhsa_system_sgpr_workgroup_info 0
		.amdhsa_system_vgpr_workitem_id 0
		.amdhsa_next_free_vgpr 6
		.amdhsa_next_free_sgpr 7
		.amdhsa_reserve_vcc 1
		.amdhsa_reserve_flat_scratch 0
		.amdhsa_float_round_mode_32 0
		.amdhsa_float_round_mode_16_64 0
		.amdhsa_float_denorm_mode_32 3
		.amdhsa_float_denorm_mode_16_64 3
		.amdhsa_dx10_clamp 1
		.amdhsa_ieee_mode 1
		.amdhsa_fp16_overflow 0
		.amdhsa_exception_fp_ieee_invalid_op 0
		.amdhsa_exception_fp_denorm_src 0
		.amdhsa_exception_fp_ieee_div_zero 0
		.amdhsa_exception_fp_ieee_overflow 0
		.amdhsa_exception_fp_ieee_underflow 0
		.amdhsa_exception_fp_ieee_inexact 0
		.amdhsa_exception_int_div_zero 0
	.end_amdhsa_kernel
	.section	.text._Z6kernelI4downdLj256ELj1ELj100EEvPKT0_PS1_,"axG",@progbits,_Z6kernelI4downdLj256ELj1ELj100EEvPKT0_PS1_,comdat
.Lfunc_end68:
	.size	_Z6kernelI4downdLj256ELj1ELj100EEvPKT0_PS1_, .Lfunc_end68-_Z6kernelI4downdLj256ELj1ELj100EEvPKT0_PS1_
                                        ; -- End function
	.set _Z6kernelI4downdLj256ELj1ELj100EEvPKT0_PS1_.num_vgpr, 6
	.set _Z6kernelI4downdLj256ELj1ELj100EEvPKT0_PS1_.num_agpr, 0
	.set _Z6kernelI4downdLj256ELj1ELj100EEvPKT0_PS1_.numbered_sgpr, 7
	.set _Z6kernelI4downdLj256ELj1ELj100EEvPKT0_PS1_.num_named_barrier, 0
	.set _Z6kernelI4downdLj256ELj1ELj100EEvPKT0_PS1_.private_seg_size, 0
	.set _Z6kernelI4downdLj256ELj1ELj100EEvPKT0_PS1_.uses_vcc, 1
	.set _Z6kernelI4downdLj256ELj1ELj100EEvPKT0_PS1_.uses_flat_scratch, 0
	.set _Z6kernelI4downdLj256ELj1ELj100EEvPKT0_PS1_.has_dyn_sized_stack, 0
	.set _Z6kernelI4downdLj256ELj1ELj100EEvPKT0_PS1_.has_recursion, 0
	.set _Z6kernelI4downdLj256ELj1ELj100EEvPKT0_PS1_.has_indirect_call, 0
	.section	.AMDGPU.csdata,"",@progbits
; Kernel info:
; codeLenInByte = 160
; TotalNumSgprs: 11
; NumVgprs: 6
; ScratchSize: 0
; MemoryBound: 0
; FloatMode: 240
; IeeeMode: 1
; LDSByteSize: 2048 bytes/workgroup (compile time only)
; SGPRBlocks: 1
; VGPRBlocks: 1
; NumSGPRsForWavesPerEU: 11
; NumVGPRsForWavesPerEU: 6
; Occupancy: 10
; WaveLimiterHint : 0
; COMPUTE_PGM_RSRC2:SCRATCH_EN: 0
; COMPUTE_PGM_RSRC2:USER_SGPR: 6
; COMPUTE_PGM_RSRC2:TRAP_HANDLER: 0
; COMPUTE_PGM_RSRC2:TGID_X_EN: 1
; COMPUTE_PGM_RSRC2:TGID_Y_EN: 0
; COMPUTE_PGM_RSRC2:TGID_Z_EN: 0
; COMPUTE_PGM_RSRC2:TIDIG_COMP_CNT: 0
	.section	.text._Z6kernelI4downdLj256ELj3ELj100EEvPKT0_PS1_,"axG",@progbits,_Z6kernelI4downdLj256ELj3ELj100EEvPKT0_PS1_,comdat
	.protected	_Z6kernelI4downdLj256ELj3ELj100EEvPKT0_PS1_ ; -- Begin function _Z6kernelI4downdLj256ELj3ELj100EEvPKT0_PS1_
	.globl	_Z6kernelI4downdLj256ELj3ELj100EEvPKT0_PS1_
	.p2align	8
	.type	_Z6kernelI4downdLj256ELj3ELj100EEvPKT0_PS1_,@function
_Z6kernelI4downdLj256ELj3ELj100EEvPKT0_PS1_: ; @_Z6kernelI4downdLj256ELj3ELj100EEvPKT0_PS1_
; %bb.0:
	s_load_dwordx4 s[0:3], s[4:5], 0x0
	v_lshl_or_b32 v1, s6, 8, v0
	v_lshl_add_u32 v5, v1, 1, v1
	v_mov_b32_e32 v6, 0
	v_lshlrev_b64 v[1:2], 3, v[5:6]
	s_waitcnt lgkmcnt(0)
	v_mov_b32_e32 v3, s1
	v_add_co_u32_e32 v9, vcc, s0, v1
	v_addc_co_u32_e32 v10, vcc, v3, v2, vcc
	v_add_u32_e32 v3, 1, v5
	v_mov_b32_e32 v4, v6
	v_lshlrev_b64 v[3:4], 3, v[3:4]
	v_add_u32_e32 v5, 2, v5
	v_mov_b32_e32 v7, s1
	v_add_co_u32_e32 v15, vcc, s0, v3
	v_lshlrev_b64 v[5:6], 3, v[5:6]
	v_addc_co_u32_e32 v16, vcc, v7, v4, vcc
	v_add_co_u32_e32 v17, vcc, s0, v5
	v_addc_co_u32_e32 v18, vcc, v7, v6, vcc
	global_load_dwordx2 v[13:14], v[9:10], off
	global_load_dwordx2 v[7:8], v[17:18], off
	global_load_dwordx2 v[11:12], v[15:16], off
	s_movk_i32 s0, 0xff
	v_lshlrev_b32_e32 v15, 3, v0
	v_cmp_gt_u32_e32 vcc, s0, v0
	s_movk_i32 s4, 0x64
	s_waitcnt vmcnt(1)
	v_mov_b32_e32 v10, v8
	v_mov_b32_e32 v9, v7
.LBB69_1:                               ; =>This Inner Loop Header: Depth=1
	ds_write_b64 v15, v[13:14]
	s_waitcnt vmcnt(0) lgkmcnt(0)
	s_barrier
	s_and_saveexec_b64 s[0:1], vcc
; %bb.2:                                ;   in Loop: Header=BB69_1 Depth=1
	ds_read_b64 v[9:10], v15 offset:8
; %bb.3:                                ;   in Loop: Header=BB69_1 Depth=1
	s_or_b64 exec, exec, s[0:1]
	s_add_i32 s4, s4, -1
	s_cmp_lg_u32 s4, 0
	s_waitcnt lgkmcnt(0)
	s_barrier
	s_cbranch_scc0 .LBB69_5
; %bb.4:                                ;   in Loop: Header=BB69_1 Depth=1
	v_mov_b32_e32 v14, v12
	v_mov_b32_e32 v13, v11
	;; [unrolled: 1-line block ×6, first 2 shown]
	s_branch .LBB69_1
.LBB69_5:
	v_mov_b32_e32 v13, s3
	v_add_co_u32_e32 v0, vcc, s2, v1
	v_addc_co_u32_e32 v1, vcc, v13, v2, vcc
	global_store_dwordx2 v[0:1], v[11:12], off
	v_mov_b32_e32 v1, s3
	v_add_co_u32_e32 v0, vcc, s2, v3
	v_addc_co_u32_e32 v1, vcc, v1, v4, vcc
	global_store_dwordx2 v[0:1], v[7:8], off
	;; [unrolled: 4-line block ×3, first 2 shown]
	s_endpgm
	.section	.rodata,"a",@progbits
	.p2align	6, 0x0
	.amdhsa_kernel _Z6kernelI4downdLj256ELj3ELj100EEvPKT0_PS1_
		.amdhsa_group_segment_fixed_size 2048
		.amdhsa_private_segment_fixed_size 0
		.amdhsa_kernarg_size 16
		.amdhsa_user_sgpr_count 6
		.amdhsa_user_sgpr_private_segment_buffer 1
		.amdhsa_user_sgpr_dispatch_ptr 0
		.amdhsa_user_sgpr_queue_ptr 0
		.amdhsa_user_sgpr_kernarg_segment_ptr 1
		.amdhsa_user_sgpr_dispatch_id 0
		.amdhsa_user_sgpr_flat_scratch_init 0
		.amdhsa_user_sgpr_private_segment_size 0
		.amdhsa_uses_dynamic_stack 0
		.amdhsa_system_sgpr_private_segment_wavefront_offset 0
		.amdhsa_system_sgpr_workgroup_id_x 1
		.amdhsa_system_sgpr_workgroup_id_y 0
		.amdhsa_system_sgpr_workgroup_id_z 0
		.amdhsa_system_sgpr_workgroup_info 0
		.amdhsa_system_vgpr_workitem_id 0
		.amdhsa_next_free_vgpr 19
		.amdhsa_next_free_sgpr 7
		.amdhsa_reserve_vcc 1
		.amdhsa_reserve_flat_scratch 0
		.amdhsa_float_round_mode_32 0
		.amdhsa_float_round_mode_16_64 0
		.amdhsa_float_denorm_mode_32 3
		.amdhsa_float_denorm_mode_16_64 3
		.amdhsa_dx10_clamp 1
		.amdhsa_ieee_mode 1
		.amdhsa_fp16_overflow 0
		.amdhsa_exception_fp_ieee_invalid_op 0
		.amdhsa_exception_fp_denorm_src 0
		.amdhsa_exception_fp_ieee_div_zero 0
		.amdhsa_exception_fp_ieee_overflow 0
		.amdhsa_exception_fp_ieee_underflow 0
		.amdhsa_exception_fp_ieee_inexact 0
		.amdhsa_exception_int_div_zero 0
	.end_amdhsa_kernel
	.section	.text._Z6kernelI4downdLj256ELj3ELj100EEvPKT0_PS1_,"axG",@progbits,_Z6kernelI4downdLj256ELj3ELj100EEvPKT0_PS1_,comdat
.Lfunc_end69:
	.size	_Z6kernelI4downdLj256ELj3ELj100EEvPKT0_PS1_, .Lfunc_end69-_Z6kernelI4downdLj256ELj3ELj100EEvPKT0_PS1_
                                        ; -- End function
	.set _Z6kernelI4downdLj256ELj3ELj100EEvPKT0_PS1_.num_vgpr, 19
	.set _Z6kernelI4downdLj256ELj3ELj100EEvPKT0_PS1_.num_agpr, 0
	.set _Z6kernelI4downdLj256ELj3ELj100EEvPKT0_PS1_.numbered_sgpr, 7
	.set _Z6kernelI4downdLj256ELj3ELj100EEvPKT0_PS1_.num_named_barrier, 0
	.set _Z6kernelI4downdLj256ELj3ELj100EEvPKT0_PS1_.private_seg_size, 0
	.set _Z6kernelI4downdLj256ELj3ELj100EEvPKT0_PS1_.uses_vcc, 1
	.set _Z6kernelI4downdLj256ELj3ELj100EEvPKT0_PS1_.uses_flat_scratch, 0
	.set _Z6kernelI4downdLj256ELj3ELj100EEvPKT0_PS1_.has_dyn_sized_stack, 0
	.set _Z6kernelI4downdLj256ELj3ELj100EEvPKT0_PS1_.has_recursion, 0
	.set _Z6kernelI4downdLj256ELj3ELj100EEvPKT0_PS1_.has_indirect_call, 0
	.section	.AMDGPU.csdata,"",@progbits
; Kernel info:
; codeLenInByte = 296
; TotalNumSgprs: 11
; NumVgprs: 19
; ScratchSize: 0
; MemoryBound: 0
; FloatMode: 240
; IeeeMode: 1
; LDSByteSize: 2048 bytes/workgroup (compile time only)
; SGPRBlocks: 1
; VGPRBlocks: 4
; NumSGPRsForWavesPerEU: 11
; NumVGPRsForWavesPerEU: 19
; Occupancy: 10
; WaveLimiterHint : 0
; COMPUTE_PGM_RSRC2:SCRATCH_EN: 0
; COMPUTE_PGM_RSRC2:USER_SGPR: 6
; COMPUTE_PGM_RSRC2:TRAP_HANDLER: 0
; COMPUTE_PGM_RSRC2:TGID_X_EN: 1
; COMPUTE_PGM_RSRC2:TGID_Y_EN: 0
; COMPUTE_PGM_RSRC2:TGID_Z_EN: 0
; COMPUTE_PGM_RSRC2:TIDIG_COMP_CNT: 0
	.section	.text._Z6kernelI4downdLj256ELj4ELj100EEvPKT0_PS1_,"axG",@progbits,_Z6kernelI4downdLj256ELj4ELj100EEvPKT0_PS1_,comdat
	.protected	_Z6kernelI4downdLj256ELj4ELj100EEvPKT0_PS1_ ; -- Begin function _Z6kernelI4downdLj256ELj4ELj100EEvPKT0_PS1_
	.globl	_Z6kernelI4downdLj256ELj4ELj100EEvPKT0_PS1_
	.p2align	8
	.type	_Z6kernelI4downdLj256ELj4ELj100EEvPKT0_PS1_,@function
_Z6kernelI4downdLj256ELj4ELj100EEvPKT0_PS1_: ; @_Z6kernelI4downdLj256ELj4ELj100EEvPKT0_PS1_
; %bb.0:
	s_load_dwordx4 s[0:3], s[4:5], 0x0
	v_lshlrev_b32_e32 v1, 2, v0
	v_lshl_or_b32 v1, s6, 10, v1
	v_mov_b32_e32 v2, 0
	v_lshlrev_b64 v[11:12], 3, v[1:2]
	s_waitcnt lgkmcnt(0)
	v_mov_b32_e32 v1, s1
	v_add_co_u32_e32 v9, vcc, s0, v11
	v_addc_co_u32_e32 v10, vcc, v1, v12, vcc
	global_load_dwordx4 v[1:4], v[9:10], off offset:16
	global_load_dwordx4 v[5:8], v[9:10], off
	s_movk_i32 s0, 0xff
	v_lshlrev_b32_e32 v13, 3, v0
	v_cmp_gt_u32_e32 vcc, s0, v0
	s_movk_i32 s4, 0x64
.LBB70_1:                               ; =>This Inner Loop Header: Depth=1
	s_waitcnt vmcnt(1)
	v_mov_b32_e32 v10, v4
	v_mov_b32_e32 v9, v3
	s_waitcnt vmcnt(0)
	ds_write_b64 v13, v[5:6]
	s_waitcnt lgkmcnt(0)
	s_barrier
	s_and_saveexec_b64 s[0:1], vcc
; %bb.2:                                ;   in Loop: Header=BB70_1 Depth=1
	ds_read_b64 v[9:10], v13 offset:8
; %bb.3:                                ;   in Loop: Header=BB70_1 Depth=1
	s_or_b64 exec, exec, s[0:1]
	s_add_i32 s4, s4, -1
	s_cmp_lg_u32 s4, 0
	s_waitcnt lgkmcnt(0)
	s_barrier
	s_cbranch_scc0 .LBB70_5
; %bb.4:                                ;   in Loop: Header=BB70_1 Depth=1
	v_mov_b32_e32 v5, v7
	v_mov_b32_e32 v6, v8
	v_mov_b32_e32 v8, v2
	v_mov_b32_e32 v7, v1
	v_mov_b32_e32 v1, v3
	v_mov_b32_e32 v2, v4
	v_mov_b32_e32 v3, v9
	v_mov_b32_e32 v4, v10
	s_branch .LBB70_1
.LBB70_5:
	v_mov_b32_e32 v0, s3
	v_add_co_u32_e32 v11, vcc, s2, v11
	v_addc_co_u32_e32 v12, vcc, v0, v12, vcc
	v_mov_b32_e32 v5, v7
	v_mov_b32_e32 v6, v8
	;; [unrolled: 1-line block ×4, first 2 shown]
	global_store_dwordx4 v[11:12], v[5:8], off
	s_nop 0
	v_mov_b32_e32 v7, v3
	v_mov_b32_e32 v8, v4
	global_store_dwordx4 v[11:12], v[7:10], off offset:16
	s_endpgm
	.section	.rodata,"a",@progbits
	.p2align	6, 0x0
	.amdhsa_kernel _Z6kernelI4downdLj256ELj4ELj100EEvPKT0_PS1_
		.amdhsa_group_segment_fixed_size 2048
		.amdhsa_private_segment_fixed_size 0
		.amdhsa_kernarg_size 16
		.amdhsa_user_sgpr_count 6
		.amdhsa_user_sgpr_private_segment_buffer 1
		.amdhsa_user_sgpr_dispatch_ptr 0
		.amdhsa_user_sgpr_queue_ptr 0
		.amdhsa_user_sgpr_kernarg_segment_ptr 1
		.amdhsa_user_sgpr_dispatch_id 0
		.amdhsa_user_sgpr_flat_scratch_init 0
		.amdhsa_user_sgpr_private_segment_size 0
		.amdhsa_uses_dynamic_stack 0
		.amdhsa_system_sgpr_private_segment_wavefront_offset 0
		.amdhsa_system_sgpr_workgroup_id_x 1
		.amdhsa_system_sgpr_workgroup_id_y 0
		.amdhsa_system_sgpr_workgroup_id_z 0
		.amdhsa_system_sgpr_workgroup_info 0
		.amdhsa_system_vgpr_workitem_id 0
		.amdhsa_next_free_vgpr 14
		.amdhsa_next_free_sgpr 7
		.amdhsa_reserve_vcc 1
		.amdhsa_reserve_flat_scratch 0
		.amdhsa_float_round_mode_32 0
		.amdhsa_float_round_mode_16_64 0
		.amdhsa_float_denorm_mode_32 3
		.amdhsa_float_denorm_mode_16_64 3
		.amdhsa_dx10_clamp 1
		.amdhsa_ieee_mode 1
		.amdhsa_fp16_overflow 0
		.amdhsa_exception_fp_ieee_invalid_op 0
		.amdhsa_exception_fp_denorm_src 0
		.amdhsa_exception_fp_ieee_div_zero 0
		.amdhsa_exception_fp_ieee_overflow 0
		.amdhsa_exception_fp_ieee_underflow 0
		.amdhsa_exception_fp_ieee_inexact 0
		.amdhsa_exception_int_div_zero 0
	.end_amdhsa_kernel
	.section	.text._Z6kernelI4downdLj256ELj4ELj100EEvPKT0_PS1_,"axG",@progbits,_Z6kernelI4downdLj256ELj4ELj100EEvPKT0_PS1_,comdat
.Lfunc_end70:
	.size	_Z6kernelI4downdLj256ELj4ELj100EEvPKT0_PS1_, .Lfunc_end70-_Z6kernelI4downdLj256ELj4ELj100EEvPKT0_PS1_
                                        ; -- End function
	.set _Z6kernelI4downdLj256ELj4ELj100EEvPKT0_PS1_.num_vgpr, 14
	.set _Z6kernelI4downdLj256ELj4ELj100EEvPKT0_PS1_.num_agpr, 0
	.set _Z6kernelI4downdLj256ELj4ELj100EEvPKT0_PS1_.numbered_sgpr, 7
	.set _Z6kernelI4downdLj256ELj4ELj100EEvPKT0_PS1_.num_named_barrier, 0
	.set _Z6kernelI4downdLj256ELj4ELj100EEvPKT0_PS1_.private_seg_size, 0
	.set _Z6kernelI4downdLj256ELj4ELj100EEvPKT0_PS1_.uses_vcc, 1
	.set _Z6kernelI4downdLj256ELj4ELj100EEvPKT0_PS1_.uses_flat_scratch, 0
	.set _Z6kernelI4downdLj256ELj4ELj100EEvPKT0_PS1_.has_dyn_sized_stack, 0
	.set _Z6kernelI4downdLj256ELj4ELj100EEvPKT0_PS1_.has_recursion, 0
	.set _Z6kernelI4downdLj256ELj4ELj100EEvPKT0_PS1_.has_indirect_call, 0
	.section	.AMDGPU.csdata,"",@progbits
; Kernel info:
; codeLenInByte = 244
; TotalNumSgprs: 11
; NumVgprs: 14
; ScratchSize: 0
; MemoryBound: 0
; FloatMode: 240
; IeeeMode: 1
; LDSByteSize: 2048 bytes/workgroup (compile time only)
; SGPRBlocks: 1
; VGPRBlocks: 3
; NumSGPRsForWavesPerEU: 11
; NumVGPRsForWavesPerEU: 14
; Occupancy: 10
; WaveLimiterHint : 0
; COMPUTE_PGM_RSRC2:SCRATCH_EN: 0
; COMPUTE_PGM_RSRC2:USER_SGPR: 6
; COMPUTE_PGM_RSRC2:TRAP_HANDLER: 0
; COMPUTE_PGM_RSRC2:TGID_X_EN: 1
; COMPUTE_PGM_RSRC2:TGID_Y_EN: 0
; COMPUTE_PGM_RSRC2:TGID_Z_EN: 0
; COMPUTE_PGM_RSRC2:TIDIG_COMP_CNT: 0
	.section	.text._Z6kernelI4downdLj256ELj8ELj100EEvPKT0_PS1_,"axG",@progbits,_Z6kernelI4downdLj256ELj8ELj100EEvPKT0_PS1_,comdat
	.protected	_Z6kernelI4downdLj256ELj8ELj100EEvPKT0_PS1_ ; -- Begin function _Z6kernelI4downdLj256ELj8ELj100EEvPKT0_PS1_
	.globl	_Z6kernelI4downdLj256ELj8ELj100EEvPKT0_PS1_
	.p2align	8
	.type	_Z6kernelI4downdLj256ELj8ELj100EEvPKT0_PS1_,@function
_Z6kernelI4downdLj256ELj8ELj100EEvPKT0_PS1_: ; @_Z6kernelI4downdLj256ELj8ELj100EEvPKT0_PS1_
; %bb.0:
	s_load_dwordx4 s[0:3], s[4:5], 0x0
	v_lshlrev_b32_e32 v19, 3, v0
	v_lshl_or_b32 v1, s6, 11, v19
	v_mov_b32_e32 v2, 0
	v_lshlrev_b64 v[21:22], 3, v[1:2]
	s_waitcnt lgkmcnt(0)
	v_mov_b32_e32 v1, s1
	v_add_co_u32_e32 v17, vcc, s0, v21
	v_addc_co_u32_e32 v18, vcc, v1, v22, vcc
	global_load_dwordx4 v[1:4], v[17:18], off offset:48
	global_load_dwordx4 v[5:8], v[17:18], off offset:32
	global_load_dwordx4 v[9:12], v[17:18], off offset:16
	global_load_dwordx4 v[13:16], v[17:18], off
	s_movk_i32 s0, 0xff
	v_cmp_gt_u32_e32 vcc, s0, v0
	s_movk_i32 s4, 0x64
.LBB71_1:                               ; =>This Inner Loop Header: Depth=1
	s_waitcnt vmcnt(0)
	v_mov_b32_e32 v18, v16
	v_mov_b32_e32 v17, v15
	;; [unrolled: 1-line block ×14, first 2 shown]
	ds_write_b64 v19, v[13:14]
	s_waitcnt lgkmcnt(0)
	s_barrier
	s_and_saveexec_b64 s[0:1], vcc
; %bb.2:                                ;   in Loop: Header=BB71_1 Depth=1
	ds_read_b64 v[3:4], v19 offset:8
; %bb.3:                                ;   in Loop: Header=BB71_1 Depth=1
	s_or_b64 exec, exec, s[0:1]
	s_add_i32 s4, s4, -1
	s_cmp_lg_u32 s4, 0
	s_waitcnt lgkmcnt(0)
	s_barrier
	s_cbranch_scc0 .LBB71_5
; %bb.4:                                ;   in Loop: Header=BB71_1 Depth=1
	v_mov_b32_e32 v13, v17
	v_mov_b32_e32 v14, v18
	s_branch .LBB71_1
.LBB71_5:
	v_mov_b32_e32 v0, s3
	v_add_co_u32_e32 v13, vcc, s2, v21
	v_mov_b32_e32 v19, v15
	v_mov_b32_e32 v20, v16
	v_addc_co_u32_e32 v14, vcc, v0, v22, vcc
	global_store_dwordx4 v[13:14], v[17:20], off
	global_store_dwordx4 v[13:14], v[9:12], off offset:16
	global_store_dwordx4 v[13:14], v[5:8], off offset:32
	global_store_dwordx4 v[13:14], v[1:4], off offset:48
	s_endpgm
	.section	.rodata,"a",@progbits
	.p2align	6, 0x0
	.amdhsa_kernel _Z6kernelI4downdLj256ELj8ELj100EEvPKT0_PS1_
		.amdhsa_group_segment_fixed_size 2048
		.amdhsa_private_segment_fixed_size 0
		.amdhsa_kernarg_size 16
		.amdhsa_user_sgpr_count 6
		.amdhsa_user_sgpr_private_segment_buffer 1
		.amdhsa_user_sgpr_dispatch_ptr 0
		.amdhsa_user_sgpr_queue_ptr 0
		.amdhsa_user_sgpr_kernarg_segment_ptr 1
		.amdhsa_user_sgpr_dispatch_id 0
		.amdhsa_user_sgpr_flat_scratch_init 0
		.amdhsa_user_sgpr_private_segment_size 0
		.amdhsa_uses_dynamic_stack 0
		.amdhsa_system_sgpr_private_segment_wavefront_offset 0
		.amdhsa_system_sgpr_workgroup_id_x 1
		.amdhsa_system_sgpr_workgroup_id_y 0
		.amdhsa_system_sgpr_workgroup_id_z 0
		.amdhsa_system_sgpr_workgroup_info 0
		.amdhsa_system_vgpr_workitem_id 0
		.amdhsa_next_free_vgpr 23
		.amdhsa_next_free_sgpr 7
		.amdhsa_reserve_vcc 1
		.amdhsa_reserve_flat_scratch 0
		.amdhsa_float_round_mode_32 0
		.amdhsa_float_round_mode_16_64 0
		.amdhsa_float_denorm_mode_32 3
		.amdhsa_float_denorm_mode_16_64 3
		.amdhsa_dx10_clamp 1
		.amdhsa_ieee_mode 1
		.amdhsa_fp16_overflow 0
		.amdhsa_exception_fp_ieee_invalid_op 0
		.amdhsa_exception_fp_denorm_src 0
		.amdhsa_exception_fp_ieee_div_zero 0
		.amdhsa_exception_fp_ieee_overflow 0
		.amdhsa_exception_fp_ieee_underflow 0
		.amdhsa_exception_fp_ieee_inexact 0
		.amdhsa_exception_int_div_zero 0
	.end_amdhsa_kernel
	.section	.text._Z6kernelI4downdLj256ELj8ELj100EEvPKT0_PS1_,"axG",@progbits,_Z6kernelI4downdLj256ELj8ELj100EEvPKT0_PS1_,comdat
.Lfunc_end71:
	.size	_Z6kernelI4downdLj256ELj8ELj100EEvPKT0_PS1_, .Lfunc_end71-_Z6kernelI4downdLj256ELj8ELj100EEvPKT0_PS1_
                                        ; -- End function
	.set _Z6kernelI4downdLj256ELj8ELj100EEvPKT0_PS1_.num_vgpr, 23
	.set _Z6kernelI4downdLj256ELj8ELj100EEvPKT0_PS1_.num_agpr, 0
	.set _Z6kernelI4downdLj256ELj8ELj100EEvPKT0_PS1_.numbered_sgpr, 7
	.set _Z6kernelI4downdLj256ELj8ELj100EEvPKT0_PS1_.num_named_barrier, 0
	.set _Z6kernelI4downdLj256ELj8ELj100EEvPKT0_PS1_.private_seg_size, 0
	.set _Z6kernelI4downdLj256ELj8ELj100EEvPKT0_PS1_.uses_vcc, 1
	.set _Z6kernelI4downdLj256ELj8ELj100EEvPKT0_PS1_.uses_flat_scratch, 0
	.set _Z6kernelI4downdLj256ELj8ELj100EEvPKT0_PS1_.has_dyn_sized_stack, 0
	.set _Z6kernelI4downdLj256ELj8ELj100EEvPKT0_PS1_.has_recursion, 0
	.set _Z6kernelI4downdLj256ELj8ELj100EEvPKT0_PS1_.has_indirect_call, 0
	.section	.AMDGPU.csdata,"",@progbits
; Kernel info:
; codeLenInByte = 272
; TotalNumSgprs: 11
; NumVgprs: 23
; ScratchSize: 0
; MemoryBound: 1
; FloatMode: 240
; IeeeMode: 1
; LDSByteSize: 2048 bytes/workgroup (compile time only)
; SGPRBlocks: 1
; VGPRBlocks: 5
; NumSGPRsForWavesPerEU: 11
; NumVGPRsForWavesPerEU: 23
; Occupancy: 10
; WaveLimiterHint : 0
; COMPUTE_PGM_RSRC2:SCRATCH_EN: 0
; COMPUTE_PGM_RSRC2:USER_SGPR: 6
; COMPUTE_PGM_RSRC2:TRAP_HANDLER: 0
; COMPUTE_PGM_RSRC2:TGID_X_EN: 1
; COMPUTE_PGM_RSRC2:TGID_Y_EN: 0
; COMPUTE_PGM_RSRC2:TGID_Z_EN: 0
; COMPUTE_PGM_RSRC2:TIDIG_COMP_CNT: 0
	.section	.text._Z6kernelI4downdLj256ELj16ELj100EEvPKT0_PS1_,"axG",@progbits,_Z6kernelI4downdLj256ELj16ELj100EEvPKT0_PS1_,comdat
	.protected	_Z6kernelI4downdLj256ELj16ELj100EEvPKT0_PS1_ ; -- Begin function _Z6kernelI4downdLj256ELj16ELj100EEvPKT0_PS1_
	.globl	_Z6kernelI4downdLj256ELj16ELj100EEvPKT0_PS1_
	.p2align	8
	.type	_Z6kernelI4downdLj256ELj16ELj100EEvPKT0_PS1_,@function
_Z6kernelI4downdLj256ELj16ELj100EEvPKT0_PS1_: ; @_Z6kernelI4downdLj256ELj16ELj100EEvPKT0_PS1_
; %bb.0:
	s_load_dwordx4 s[0:3], s[4:5], 0x0
	v_lshlrev_b32_e32 v1, 4, v0
	v_lshl_or_b32 v1, s6, 12, v1
	v_mov_b32_e32 v2, 0
	v_lshlrev_b64 v[37:38], 3, v[1:2]
	s_waitcnt lgkmcnt(0)
	v_mov_b32_e32 v1, s1
	v_add_co_u32_e32 v33, vcc, s0, v37
	v_addc_co_u32_e32 v34, vcc, v1, v38, vcc
	global_load_dwordx4 v[1:4], v[33:34], off offset:48
	global_load_dwordx4 v[5:8], v[33:34], off offset:32
	;; [unrolled: 1-line block ×3, first 2 shown]
	global_load_dwordx4 v[29:32], v[33:34], off
	global_load_dwordx4 v[9:12], v[33:34], off offset:112
	global_load_dwordx4 v[13:16], v[33:34], off offset:96
	;; [unrolled: 1-line block ×4, first 2 shown]
	s_movk_i32 s0, 0xff
	v_lshlrev_b32_e32 v35, 3, v0
	v_cmp_gt_u32_e32 vcc, s0, v0
	s_movk_i32 s4, 0x64
.LBB72_1:                               ; =>This Inner Loop Header: Depth=1
	s_waitcnt vmcnt(4)
	v_mov_b32_e32 v34, v32
	v_mov_b32_e32 v33, v31
	;; [unrolled: 1-line block ×14, first 2 shown]
	s_waitcnt vmcnt(0)
	v_mov_b32_e32 v3, v21
	v_mov_b32_e32 v4, v22
	;; [unrolled: 1-line block ×16, first 2 shown]
	ds_write_b64 v35, v[29:30]
	s_waitcnt lgkmcnt(0)
	s_barrier
	s_and_saveexec_b64 s[0:1], vcc
; %bb.2:                                ;   in Loop: Header=BB72_1 Depth=1
	ds_read_b64 v[11:12], v35 offset:8
; %bb.3:                                ;   in Loop: Header=BB72_1 Depth=1
	s_or_b64 exec, exec, s[0:1]
	s_add_i32 s4, s4, -1
	s_cmp_lg_u32 s4, 0
	s_waitcnt lgkmcnt(0)
	s_barrier
	s_cbranch_scc0 .LBB72_5
; %bb.4:                                ;   in Loop: Header=BB72_1 Depth=1
	v_mov_b32_e32 v29, v33
	v_mov_b32_e32 v30, v34
	s_branch .LBB72_1
.LBB72_5:
	v_mov_b32_e32 v0, s3
	v_add_co_u32_e32 v29, vcc, s2, v37
	v_mov_b32_e32 v35, v31
	v_mov_b32_e32 v36, v32
	v_addc_co_u32_e32 v30, vcc, v0, v38, vcc
	global_store_dwordx4 v[29:30], v[33:36], off
	global_store_dwordx4 v[29:30], v[25:28], off offset:16
	global_store_dwordx4 v[29:30], v[5:8], off offset:32
	;; [unrolled: 1-line block ×7, first 2 shown]
	s_endpgm
	.section	.rodata,"a",@progbits
	.p2align	6, 0x0
	.amdhsa_kernel _Z6kernelI4downdLj256ELj16ELj100EEvPKT0_PS1_
		.amdhsa_group_segment_fixed_size 2048
		.amdhsa_private_segment_fixed_size 0
		.amdhsa_kernarg_size 16
		.amdhsa_user_sgpr_count 6
		.amdhsa_user_sgpr_private_segment_buffer 1
		.amdhsa_user_sgpr_dispatch_ptr 0
		.amdhsa_user_sgpr_queue_ptr 0
		.amdhsa_user_sgpr_kernarg_segment_ptr 1
		.amdhsa_user_sgpr_dispatch_id 0
		.amdhsa_user_sgpr_flat_scratch_init 0
		.amdhsa_user_sgpr_private_segment_size 0
		.amdhsa_uses_dynamic_stack 0
		.amdhsa_system_sgpr_private_segment_wavefront_offset 0
		.amdhsa_system_sgpr_workgroup_id_x 1
		.amdhsa_system_sgpr_workgroup_id_y 0
		.amdhsa_system_sgpr_workgroup_id_z 0
		.amdhsa_system_sgpr_workgroup_info 0
		.amdhsa_system_vgpr_workitem_id 0
		.amdhsa_next_free_vgpr 39
		.amdhsa_next_free_sgpr 7
		.amdhsa_reserve_vcc 1
		.amdhsa_reserve_flat_scratch 0
		.amdhsa_float_round_mode_32 0
		.amdhsa_float_round_mode_16_64 0
		.amdhsa_float_denorm_mode_32 3
		.amdhsa_float_denorm_mode_16_64 3
		.amdhsa_dx10_clamp 1
		.amdhsa_ieee_mode 1
		.amdhsa_fp16_overflow 0
		.amdhsa_exception_fp_ieee_invalid_op 0
		.amdhsa_exception_fp_denorm_src 0
		.amdhsa_exception_fp_ieee_div_zero 0
		.amdhsa_exception_fp_ieee_overflow 0
		.amdhsa_exception_fp_ieee_underflow 0
		.amdhsa_exception_fp_ieee_inexact 0
		.amdhsa_exception_int_div_zero 0
	.end_amdhsa_kernel
	.section	.text._Z6kernelI4downdLj256ELj16ELj100EEvPKT0_PS1_,"axG",@progbits,_Z6kernelI4downdLj256ELj16ELj100EEvPKT0_PS1_,comdat
.Lfunc_end72:
	.size	_Z6kernelI4downdLj256ELj16ELj100EEvPKT0_PS1_, .Lfunc_end72-_Z6kernelI4downdLj256ELj16ELj100EEvPKT0_PS1_
                                        ; -- End function
	.set _Z6kernelI4downdLj256ELj16ELj100EEvPKT0_PS1_.num_vgpr, 39
	.set _Z6kernelI4downdLj256ELj16ELj100EEvPKT0_PS1_.num_agpr, 0
	.set _Z6kernelI4downdLj256ELj16ELj100EEvPKT0_PS1_.numbered_sgpr, 7
	.set _Z6kernelI4downdLj256ELj16ELj100EEvPKT0_PS1_.num_named_barrier, 0
	.set _Z6kernelI4downdLj256ELj16ELj100EEvPKT0_PS1_.private_seg_size, 0
	.set _Z6kernelI4downdLj256ELj16ELj100EEvPKT0_PS1_.uses_vcc, 1
	.set _Z6kernelI4downdLj256ELj16ELj100EEvPKT0_PS1_.uses_flat_scratch, 0
	.set _Z6kernelI4downdLj256ELj16ELj100EEvPKT0_PS1_.has_dyn_sized_stack, 0
	.set _Z6kernelI4downdLj256ELj16ELj100EEvPKT0_PS1_.has_recursion, 0
	.set _Z6kernelI4downdLj256ELj16ELj100EEvPKT0_PS1_.has_indirect_call, 0
	.section	.AMDGPU.csdata,"",@progbits
; Kernel info:
; codeLenInByte = 408
; TotalNumSgprs: 11
; NumVgprs: 39
; ScratchSize: 0
; MemoryBound: 1
; FloatMode: 240
; IeeeMode: 1
; LDSByteSize: 2048 bytes/workgroup (compile time only)
; SGPRBlocks: 1
; VGPRBlocks: 9
; NumSGPRsForWavesPerEU: 11
; NumVGPRsForWavesPerEU: 39
; Occupancy: 6
; WaveLimiterHint : 0
; COMPUTE_PGM_RSRC2:SCRATCH_EN: 0
; COMPUTE_PGM_RSRC2:USER_SGPR: 6
; COMPUTE_PGM_RSRC2:TRAP_HANDLER: 0
; COMPUTE_PGM_RSRC2:TGID_X_EN: 1
; COMPUTE_PGM_RSRC2:TGID_Y_EN: 0
; COMPUTE_PGM_RSRC2:TGID_Z_EN: 0
; COMPUTE_PGM_RSRC2:TIDIG_COMP_CNT: 0
	.section	.text._Z6kernelI4downdLj256ELj32ELj100EEvPKT0_PS1_,"axG",@progbits,_Z6kernelI4downdLj256ELj32ELj100EEvPKT0_PS1_,comdat
	.protected	_Z6kernelI4downdLj256ELj32ELj100EEvPKT0_PS1_ ; -- Begin function _Z6kernelI4downdLj256ELj32ELj100EEvPKT0_PS1_
	.globl	_Z6kernelI4downdLj256ELj32ELj100EEvPKT0_PS1_
	.p2align	8
	.type	_Z6kernelI4downdLj256ELj32ELj100EEvPKT0_PS1_,@function
_Z6kernelI4downdLj256ELj32ELj100EEvPKT0_PS1_: ; @_Z6kernelI4downdLj256ELj32ELj100EEvPKT0_PS1_
; %bb.0:
	s_load_dwordx4 s[0:3], s[4:5], 0x0
	v_lshlrev_b32_e32 v1, 5, v0
	v_lshl_or_b32 v1, s6, 13, v1
	v_mov_b32_e32 v2, 0
	v_lshlrev_b64 v[67:68], 3, v[1:2]
	s_waitcnt lgkmcnt(0)
	v_mov_b32_e32 v1, s1
	v_add_co_u32_e32 v25, vcc, s0, v67
	v_addc_co_u32_e32 v26, vcc, v1, v68, vcc
	global_load_dwordx4 v[1:4], v[25:26], off offset:48
	global_load_dwordx4 v[5:8], v[25:26], off offset:32
	;; [unrolled: 1-line block ×3, first 2 shown]
	global_load_dwordx4 v[61:64], v[25:26], off
	global_load_dwordx4 v[37:40], v[25:26], off offset:112
	global_load_dwordx4 v[45:48], v[25:26], off offset:96
	;; [unrolled: 1-line block ×11, first 2 shown]
	s_nop 0
	global_load_dwordx4 v[25:28], v[25:26], off offset:192
	s_movk_i32 s0, 0xff
	v_lshlrev_b32_e32 v69, 3, v0
	v_cmp_gt_u32_e32 vcc, s0, v0
	s_movk_i32 s4, 0x64
.LBB73_1:                               ; =>This Inner Loop Header: Depth=1
	s_waitcnt vmcnt(12)
	v_mov_b32_e32 v66, v64
	v_mov_b32_e32 v65, v63
	v_mov_b32_e32 v64, v58
	v_mov_b32_e32 v63, v57
	v_mov_b32_e32 v57, v59
	v_mov_b32_e32 v58, v60
	v_mov_b32_e32 v60, v6
	v_mov_b32_e32 v59, v5
	v_mov_b32_e32 v5, v7
	v_mov_b32_e32 v6, v8
	v_mov_b32_e32 v8, v2
	v_mov_b32_e32 v7, v1
	v_mov_b32_e32 v1, v3
	v_mov_b32_e32 v2, v4
	s_waitcnt vmcnt(8)
	v_mov_b32_e32 v3, v53
	v_mov_b32_e32 v4, v54
	v_mov_b32_e32 v53, v55
	v_mov_b32_e32 v54, v56
	v_mov_b32_e32 v56, v50
	v_mov_b32_e32 v55, v49
	v_mov_b32_e32 v49, v51
	v_mov_b32_e32 v50, v52
	v_mov_b32_e32 v52, v46
	v_mov_b32_e32 v51, v45
	v_mov_b32_e32 v45, v47
	v_mov_b32_e32 v46, v48
	v_mov_b32_e32 v48, v38
	v_mov_b32_e32 v47, v37
	v_mov_b32_e32 v37, v39
	v_mov_b32_e32 v38, v40
	s_waitcnt vmcnt(4)
	v_mov_b32_e32 v39, v41
	v_mov_b32_e32 v40, v42
	;; [unrolled: 17-line block ×3, first 2 shown]
	v_mov_b32_e32 v25, v27
	v_mov_b32_e32 v26, v28
	;; [unrolled: 1-line block ×14, first 2 shown]
	ds_write_b64 v69, v[61:62]
	s_waitcnt lgkmcnt(0)
	s_barrier
	s_and_saveexec_b64 s[0:1], vcc
; %bb.2:                                ;   in Loop: Header=BB73_1 Depth=1
	ds_read_b64 v[11:12], v69 offset:8
; %bb.3:                                ;   in Loop: Header=BB73_1 Depth=1
	s_or_b64 exec, exec, s[0:1]
	s_add_i32 s4, s4, -1
	s_cmp_lg_u32 s4, 0
	s_waitcnt lgkmcnt(0)
	s_barrier
	s_cbranch_scc0 .LBB73_5
; %bb.4:                                ;   in Loop: Header=BB73_1 Depth=1
	v_mov_b32_e32 v61, v65
	v_mov_b32_e32 v62, v66
	s_branch .LBB73_1
.LBB73_5:
	v_mov_b32_e32 v0, s3
	v_add_co_u32_e32 v61, vcc, s2, v67
	v_addc_co_u32_e32 v62, vcc, v0, v68, vcc
	v_mov_b32_e32 v67, v63
	v_mov_b32_e32 v68, v64
	global_store_dwordx4 v[61:62], v[65:68], off
	global_store_dwordx4 v[61:62], v[57:60], off offset:16
	global_store_dwordx4 v[61:62], v[5:8], off offset:32
	;; [unrolled: 1-line block ×15, first 2 shown]
	s_endpgm
	.section	.rodata,"a",@progbits
	.p2align	6, 0x0
	.amdhsa_kernel _Z6kernelI4downdLj256ELj32ELj100EEvPKT0_PS1_
		.amdhsa_group_segment_fixed_size 2048
		.amdhsa_private_segment_fixed_size 0
		.amdhsa_kernarg_size 16
		.amdhsa_user_sgpr_count 6
		.amdhsa_user_sgpr_private_segment_buffer 1
		.amdhsa_user_sgpr_dispatch_ptr 0
		.amdhsa_user_sgpr_queue_ptr 0
		.amdhsa_user_sgpr_kernarg_segment_ptr 1
		.amdhsa_user_sgpr_dispatch_id 0
		.amdhsa_user_sgpr_flat_scratch_init 0
		.amdhsa_user_sgpr_private_segment_size 0
		.amdhsa_uses_dynamic_stack 0
		.amdhsa_system_sgpr_private_segment_wavefront_offset 0
		.amdhsa_system_sgpr_workgroup_id_x 1
		.amdhsa_system_sgpr_workgroup_id_y 0
		.amdhsa_system_sgpr_workgroup_id_z 0
		.amdhsa_system_sgpr_workgroup_info 0
		.amdhsa_system_vgpr_workitem_id 0
		.amdhsa_next_free_vgpr 70
		.amdhsa_next_free_sgpr 7
		.amdhsa_reserve_vcc 1
		.amdhsa_reserve_flat_scratch 0
		.amdhsa_float_round_mode_32 0
		.amdhsa_float_round_mode_16_64 0
		.amdhsa_float_denorm_mode_32 3
		.amdhsa_float_denorm_mode_16_64 3
		.amdhsa_dx10_clamp 1
		.amdhsa_ieee_mode 1
		.amdhsa_fp16_overflow 0
		.amdhsa_exception_fp_ieee_invalid_op 0
		.amdhsa_exception_fp_denorm_src 0
		.amdhsa_exception_fp_ieee_div_zero 0
		.amdhsa_exception_fp_ieee_overflow 0
		.amdhsa_exception_fp_ieee_underflow 0
		.amdhsa_exception_fp_ieee_inexact 0
		.amdhsa_exception_int_div_zero 0
	.end_amdhsa_kernel
	.section	.text._Z6kernelI4downdLj256ELj32ELj100EEvPKT0_PS1_,"axG",@progbits,_Z6kernelI4downdLj256ELj32ELj100EEvPKT0_PS1_,comdat
.Lfunc_end73:
	.size	_Z6kernelI4downdLj256ELj32ELj100EEvPKT0_PS1_, .Lfunc_end73-_Z6kernelI4downdLj256ELj32ELj100EEvPKT0_PS1_
                                        ; -- End function
	.set _Z6kernelI4downdLj256ELj32ELj100EEvPKT0_PS1_.num_vgpr, 70
	.set _Z6kernelI4downdLj256ELj32ELj100EEvPKT0_PS1_.num_agpr, 0
	.set _Z6kernelI4downdLj256ELj32ELj100EEvPKT0_PS1_.numbered_sgpr, 7
	.set _Z6kernelI4downdLj256ELj32ELj100EEvPKT0_PS1_.num_named_barrier, 0
	.set _Z6kernelI4downdLj256ELj32ELj100EEvPKT0_PS1_.private_seg_size, 0
	.set _Z6kernelI4downdLj256ELj32ELj100EEvPKT0_PS1_.uses_vcc, 1
	.set _Z6kernelI4downdLj256ELj32ELj100EEvPKT0_PS1_.uses_flat_scratch, 0
	.set _Z6kernelI4downdLj256ELj32ELj100EEvPKT0_PS1_.has_dyn_sized_stack, 0
	.set _Z6kernelI4downdLj256ELj32ELj100EEvPKT0_PS1_.has_recursion, 0
	.set _Z6kernelI4downdLj256ELj32ELj100EEvPKT0_PS1_.has_indirect_call, 0
	.section	.AMDGPU.csdata,"",@progbits
; Kernel info:
; codeLenInByte = 676
; TotalNumSgprs: 11
; NumVgprs: 70
; ScratchSize: 0
; MemoryBound: 1
; FloatMode: 240
; IeeeMode: 1
; LDSByteSize: 2048 bytes/workgroup (compile time only)
; SGPRBlocks: 1
; VGPRBlocks: 17
; NumSGPRsForWavesPerEU: 11
; NumVGPRsForWavesPerEU: 70
; Occupancy: 3
; WaveLimiterHint : 0
; COMPUTE_PGM_RSRC2:SCRATCH_EN: 0
; COMPUTE_PGM_RSRC2:USER_SGPR: 6
; COMPUTE_PGM_RSRC2:TRAP_HANDLER: 0
; COMPUTE_PGM_RSRC2:TGID_X_EN: 1
; COMPUTE_PGM_RSRC2:TGID_Y_EN: 0
; COMPUTE_PGM_RSRC2:TGID_Z_EN: 0
; COMPUTE_PGM_RSRC2:TIDIG_COMP_CNT: 0
	.section	.text._Z6kernelI4downaLj256ELj1ELj100EEvPKT0_PS1_,"axG",@progbits,_Z6kernelI4downaLj256ELj1ELj100EEvPKT0_PS1_,comdat
	.protected	_Z6kernelI4downaLj256ELj1ELj100EEvPKT0_PS1_ ; -- Begin function _Z6kernelI4downaLj256ELj1ELj100EEvPKT0_PS1_
	.globl	_Z6kernelI4downaLj256ELj1ELj100EEvPKT0_PS1_
	.p2align	8
	.type	_Z6kernelI4downaLj256ELj1ELj100EEvPKT0_PS1_,@function
_Z6kernelI4downaLj256ELj1ELj100EEvPKT0_PS1_: ; @_Z6kernelI4downaLj256ELj1ELj100EEvPKT0_PS1_
; %bb.0:
	s_load_dwordx4 s[0:3], s[4:5], 0x0
	v_lshl_or_b32 v2, s6, 8, v0
	s_movk_i32 s4, 0x64
	s_waitcnt lgkmcnt(0)
	global_load_ubyte v1, v2, s[0:1]
	s_movk_i32 s0, 0xff
	v_cmp_gt_u32_e32 vcc, s0, v0
	s_branch .LBB74_2
.LBB74_1:                               ;   in Loop: Header=BB74_2 Depth=1
	s_or_b64 exec, exec, s[0:1]
	s_add_i32 s4, s4, -1
	s_cmp_lg_u32 s4, 0
	s_waitcnt lgkmcnt(0)
	s_barrier
	s_cbranch_scc0 .LBB74_4
.LBB74_2:                               ; =>This Inner Loop Header: Depth=1
	s_waitcnt vmcnt(0)
	ds_write_b8 v0, v1
	s_waitcnt lgkmcnt(0)
	s_barrier
	s_and_saveexec_b64 s[0:1], vcc
	s_cbranch_execz .LBB74_1
; %bb.3:                                ;   in Loop: Header=BB74_2 Depth=1
	ds_read_u8 v1, v0 offset:1
	s_branch .LBB74_1
.LBB74_4:
	v_mov_b32_e32 v0, s3
	v_add_co_u32_e32 v2, vcc, s2, v2
	v_addc_co_u32_e32 v3, vcc, 0, v0, vcc
	global_store_byte v[2:3], v1, off
	s_endpgm
	.section	.rodata,"a",@progbits
	.p2align	6, 0x0
	.amdhsa_kernel _Z6kernelI4downaLj256ELj1ELj100EEvPKT0_PS1_
		.amdhsa_group_segment_fixed_size 256
		.amdhsa_private_segment_fixed_size 0
		.amdhsa_kernarg_size 16
		.amdhsa_user_sgpr_count 6
		.amdhsa_user_sgpr_private_segment_buffer 1
		.amdhsa_user_sgpr_dispatch_ptr 0
		.amdhsa_user_sgpr_queue_ptr 0
		.amdhsa_user_sgpr_kernarg_segment_ptr 1
		.amdhsa_user_sgpr_dispatch_id 0
		.amdhsa_user_sgpr_flat_scratch_init 0
		.amdhsa_user_sgpr_private_segment_size 0
		.amdhsa_uses_dynamic_stack 0
		.amdhsa_system_sgpr_private_segment_wavefront_offset 0
		.amdhsa_system_sgpr_workgroup_id_x 1
		.amdhsa_system_sgpr_workgroup_id_y 0
		.amdhsa_system_sgpr_workgroup_id_z 0
		.amdhsa_system_sgpr_workgroup_info 0
		.amdhsa_system_vgpr_workitem_id 0
		.amdhsa_next_free_vgpr 4
		.amdhsa_next_free_sgpr 7
		.amdhsa_reserve_vcc 1
		.amdhsa_reserve_flat_scratch 0
		.amdhsa_float_round_mode_32 0
		.amdhsa_float_round_mode_16_64 0
		.amdhsa_float_denorm_mode_32 3
		.amdhsa_float_denorm_mode_16_64 3
		.amdhsa_dx10_clamp 1
		.amdhsa_ieee_mode 1
		.amdhsa_fp16_overflow 0
		.amdhsa_exception_fp_ieee_invalid_op 0
		.amdhsa_exception_fp_denorm_src 0
		.amdhsa_exception_fp_ieee_div_zero 0
		.amdhsa_exception_fp_ieee_overflow 0
		.amdhsa_exception_fp_ieee_underflow 0
		.amdhsa_exception_fp_ieee_inexact 0
		.amdhsa_exception_int_div_zero 0
	.end_amdhsa_kernel
	.section	.text._Z6kernelI4downaLj256ELj1ELj100EEvPKT0_PS1_,"axG",@progbits,_Z6kernelI4downaLj256ELj1ELj100EEvPKT0_PS1_,comdat
.Lfunc_end74:
	.size	_Z6kernelI4downaLj256ELj1ELj100EEvPKT0_PS1_, .Lfunc_end74-_Z6kernelI4downaLj256ELj1ELj100EEvPKT0_PS1_
                                        ; -- End function
	.set _Z6kernelI4downaLj256ELj1ELj100EEvPKT0_PS1_.num_vgpr, 4
	.set _Z6kernelI4downaLj256ELj1ELj100EEvPKT0_PS1_.num_agpr, 0
	.set _Z6kernelI4downaLj256ELj1ELj100EEvPKT0_PS1_.numbered_sgpr, 7
	.set _Z6kernelI4downaLj256ELj1ELj100EEvPKT0_PS1_.num_named_barrier, 0
	.set _Z6kernelI4downaLj256ELj1ELj100EEvPKT0_PS1_.private_seg_size, 0
	.set _Z6kernelI4downaLj256ELj1ELj100EEvPKT0_PS1_.uses_vcc, 1
	.set _Z6kernelI4downaLj256ELj1ELj100EEvPKT0_PS1_.uses_flat_scratch, 0
	.set _Z6kernelI4downaLj256ELj1ELj100EEvPKT0_PS1_.has_dyn_sized_stack, 0
	.set _Z6kernelI4downaLj256ELj1ELj100EEvPKT0_PS1_.has_recursion, 0
	.set _Z6kernelI4downaLj256ELj1ELj100EEvPKT0_PS1_.has_indirect_call, 0
	.section	.AMDGPU.csdata,"",@progbits
; Kernel info:
; codeLenInByte = 132
; TotalNumSgprs: 11
; NumVgprs: 4
; ScratchSize: 0
; MemoryBound: 0
; FloatMode: 240
; IeeeMode: 1
; LDSByteSize: 256 bytes/workgroup (compile time only)
; SGPRBlocks: 1
; VGPRBlocks: 0
; NumSGPRsForWavesPerEU: 11
; NumVGPRsForWavesPerEU: 4
; Occupancy: 10
; WaveLimiterHint : 0
; COMPUTE_PGM_RSRC2:SCRATCH_EN: 0
; COMPUTE_PGM_RSRC2:USER_SGPR: 6
; COMPUTE_PGM_RSRC2:TRAP_HANDLER: 0
; COMPUTE_PGM_RSRC2:TGID_X_EN: 1
; COMPUTE_PGM_RSRC2:TGID_Y_EN: 0
; COMPUTE_PGM_RSRC2:TGID_Z_EN: 0
; COMPUTE_PGM_RSRC2:TIDIG_COMP_CNT: 0
	.section	.text._Z6kernelI4downaLj256ELj3ELj100EEvPKT0_PS1_,"axG",@progbits,_Z6kernelI4downaLj256ELj3ELj100EEvPKT0_PS1_,comdat
	.protected	_Z6kernelI4downaLj256ELj3ELj100EEvPKT0_PS1_ ; -- Begin function _Z6kernelI4downaLj256ELj3ELj100EEvPKT0_PS1_
	.globl	_Z6kernelI4downaLj256ELj3ELj100EEvPKT0_PS1_
	.p2align	8
	.type	_Z6kernelI4downaLj256ELj3ELj100EEvPKT0_PS1_,@function
_Z6kernelI4downaLj256ELj3ELj100EEvPKT0_PS1_: ; @_Z6kernelI4downaLj256ELj3ELj100EEvPKT0_PS1_
; %bb.0:
	s_load_dwordx4 s[0:3], s[4:5], 0x0
	v_lshl_or_b32 v1, s6, 8, v0
	v_lshl_add_u32 v3, v1, 1, v1
	v_add_u32_e32 v2, 1, v3
	v_add_u32_e32 v1, 2, v3
	s_waitcnt lgkmcnt(0)
	global_load_ubyte v4, v2, s[0:1]
	global_load_ubyte v5, v3, s[0:1]
	;; [unrolled: 1-line block ×3, first 2 shown]
	s_mov_b32 s0, 0xc0c0004
	s_movk_i32 s1, 0xff
	s_movk_i32 s4, 0x64
	s_mov_b32 s5, 0x7060605
	s_mov_b32 s6, 0xff0000
	v_cmp_gt_u32_e32 vcc, s1, v0
	s_waitcnt vmcnt(1)
	v_perm_b32 v4, v5, v4, s0
	s_waitcnt vmcnt(0)
	v_lshl_or_b32 v4, v6, 16, v4
	v_mov_b32_e32 v5, 8
	s_branch .LBB75_2
.LBB75_1:                               ;   in Loop: Header=BB75_2 Depth=1
	s_or_b64 exec, exec, s[0:1]
	s_add_i32 s4, s4, -1
	s_cmp_lg_u32 s4, 0
	s_barrier
	s_cbranch_scc0 .LBB75_4
.LBB75_2:                               ; =>This Inner Loop Header: Depth=1
	v_perm_b32 v6, v4, v4, s5
	v_lshrrev_b32_sdwa v7, v5, v6 dst_sel:BYTE_1 dst_unused:UNUSED_PAD src0_sel:DWORD src1_sel:DWORD
	v_or_b32_sdwa v6, v6, v7 dst_sel:DWORD dst_unused:UNUSED_PAD src0_sel:BYTE_0 src1_sel:DWORD
	v_and_b32_e32 v6, 0xffff, v6
	ds_write_b8 v0, v4
	v_and_or_b32 v4, v4, s6, v6
	s_waitcnt lgkmcnt(0)
	s_barrier
	s_and_saveexec_b64 s[0:1], vcc
	s_cbranch_execz .LBB75_1
; %bb.3:                                ;   in Loop: Header=BB75_2 Depth=1
	ds_read_u8 v6, v0 offset:1
	v_lshrrev_b32_sdwa v7, v5, v4 dst_sel:BYTE_1 dst_unused:UNUSED_PAD src0_sel:DWORD src1_sel:DWORD
	v_or_b32_sdwa v4, v4, v7 dst_sel:DWORD dst_unused:UNUSED_PAD src0_sel:BYTE_0 src1_sel:DWORD
	v_and_b32_e32 v4, 0xffff, v4
	s_waitcnt lgkmcnt(0)
	v_lshl_or_b32 v4, v6, 16, v4
	s_branch .LBB75_1
.LBB75_4:
	v_mov_b32_e32 v0, s3
	v_add_co_u32_e32 v5, vcc, s2, v3
	v_addc_co_u32_e32 v6, vcc, 0, v0, vcc
	v_mov_b32_e32 v3, s3
	v_add_co_u32_e32 v2, vcc, s2, v2
	v_lshrrev_b32_e32 v0, 8, v4
	v_addc_co_u32_e32 v3, vcc, 0, v3, vcc
	global_store_byte v[2:3], v0, off
	v_mov_b32_e32 v2, s3
	v_add_co_u32_e32 v0, vcc, s2, v1
	v_addc_co_u32_e32 v1, vcc, 0, v2, vcc
	global_store_byte v[5:6], v4, off
	global_store_byte_d16_hi v[0:1], v4, off
	s_endpgm
	.section	.rodata,"a",@progbits
	.p2align	6, 0x0
	.amdhsa_kernel _Z6kernelI4downaLj256ELj3ELj100EEvPKT0_PS1_
		.amdhsa_group_segment_fixed_size 256
		.amdhsa_private_segment_fixed_size 0
		.amdhsa_kernarg_size 16
		.amdhsa_user_sgpr_count 6
		.amdhsa_user_sgpr_private_segment_buffer 1
		.amdhsa_user_sgpr_dispatch_ptr 0
		.amdhsa_user_sgpr_queue_ptr 0
		.amdhsa_user_sgpr_kernarg_segment_ptr 1
		.amdhsa_user_sgpr_dispatch_id 0
		.amdhsa_user_sgpr_flat_scratch_init 0
		.amdhsa_user_sgpr_private_segment_size 0
		.amdhsa_uses_dynamic_stack 0
		.amdhsa_system_sgpr_private_segment_wavefront_offset 0
		.amdhsa_system_sgpr_workgroup_id_x 1
		.amdhsa_system_sgpr_workgroup_id_y 0
		.amdhsa_system_sgpr_workgroup_id_z 0
		.amdhsa_system_sgpr_workgroup_info 0
		.amdhsa_system_vgpr_workitem_id 0
		.amdhsa_next_free_vgpr 8
		.amdhsa_next_free_sgpr 7
		.amdhsa_reserve_vcc 1
		.amdhsa_reserve_flat_scratch 0
		.amdhsa_float_round_mode_32 0
		.amdhsa_float_round_mode_16_64 0
		.amdhsa_float_denorm_mode_32 3
		.amdhsa_float_denorm_mode_16_64 3
		.amdhsa_dx10_clamp 1
		.amdhsa_ieee_mode 1
		.amdhsa_fp16_overflow 0
		.amdhsa_exception_fp_ieee_invalid_op 0
		.amdhsa_exception_fp_denorm_src 0
		.amdhsa_exception_fp_ieee_div_zero 0
		.amdhsa_exception_fp_ieee_overflow 0
		.amdhsa_exception_fp_ieee_underflow 0
		.amdhsa_exception_fp_ieee_inexact 0
		.amdhsa_exception_int_div_zero 0
	.end_amdhsa_kernel
	.section	.text._Z6kernelI4downaLj256ELj3ELj100EEvPKT0_PS1_,"axG",@progbits,_Z6kernelI4downaLj256ELj3ELj100EEvPKT0_PS1_,comdat
.Lfunc_end75:
	.size	_Z6kernelI4downaLj256ELj3ELj100EEvPKT0_PS1_, .Lfunc_end75-_Z6kernelI4downaLj256ELj3ELj100EEvPKT0_PS1_
                                        ; -- End function
	.set _Z6kernelI4downaLj256ELj3ELj100EEvPKT0_PS1_.num_vgpr, 8
	.set _Z6kernelI4downaLj256ELj3ELj100EEvPKT0_PS1_.num_agpr, 0
	.set _Z6kernelI4downaLj256ELj3ELj100EEvPKT0_PS1_.numbered_sgpr, 7
	.set _Z6kernelI4downaLj256ELj3ELj100EEvPKT0_PS1_.num_named_barrier, 0
	.set _Z6kernelI4downaLj256ELj3ELj100EEvPKT0_PS1_.private_seg_size, 0
	.set _Z6kernelI4downaLj256ELj3ELj100EEvPKT0_PS1_.uses_vcc, 1
	.set _Z6kernelI4downaLj256ELj3ELj100EEvPKT0_PS1_.uses_flat_scratch, 0
	.set _Z6kernelI4downaLj256ELj3ELj100EEvPKT0_PS1_.has_dyn_sized_stack, 0
	.set _Z6kernelI4downaLj256ELj3ELj100EEvPKT0_PS1_.has_recursion, 0
	.set _Z6kernelI4downaLj256ELj3ELj100EEvPKT0_PS1_.has_indirect_call, 0
	.section	.AMDGPU.csdata,"",@progbits
; Kernel info:
; codeLenInByte = 328
; TotalNumSgprs: 11
; NumVgprs: 8
; ScratchSize: 0
; MemoryBound: 0
; FloatMode: 240
; IeeeMode: 1
; LDSByteSize: 256 bytes/workgroup (compile time only)
; SGPRBlocks: 1
; VGPRBlocks: 1
; NumSGPRsForWavesPerEU: 11
; NumVGPRsForWavesPerEU: 8
; Occupancy: 10
; WaveLimiterHint : 0
; COMPUTE_PGM_RSRC2:SCRATCH_EN: 0
; COMPUTE_PGM_RSRC2:USER_SGPR: 6
; COMPUTE_PGM_RSRC2:TRAP_HANDLER: 0
; COMPUTE_PGM_RSRC2:TGID_X_EN: 1
; COMPUTE_PGM_RSRC2:TGID_Y_EN: 0
; COMPUTE_PGM_RSRC2:TGID_Z_EN: 0
; COMPUTE_PGM_RSRC2:TIDIG_COMP_CNT: 0
	.section	.text._Z6kernelI4downaLj256ELj4ELj100EEvPKT0_PS1_,"axG",@progbits,_Z6kernelI4downaLj256ELj4ELj100EEvPKT0_PS1_,comdat
	.protected	_Z6kernelI4downaLj256ELj4ELj100EEvPKT0_PS1_ ; -- Begin function _Z6kernelI4downaLj256ELj4ELj100EEvPKT0_PS1_
	.globl	_Z6kernelI4downaLj256ELj4ELj100EEvPKT0_PS1_
	.p2align	8
	.type	_Z6kernelI4downaLj256ELj4ELj100EEvPKT0_PS1_,@function
_Z6kernelI4downaLj256ELj4ELj100EEvPKT0_PS1_: ; @_Z6kernelI4downaLj256ELj4ELj100EEvPKT0_PS1_
; %bb.0:
	s_load_dwordx4 s[0:3], s[4:5], 0x0
	v_lshlrev_b32_e32 v1, 2, v0
	v_lshl_or_b32 v2, s6, 10, v1
	s_movk_i32 s4, 0x64
	s_mov_b32 s5, 0x7070605
	s_waitcnt lgkmcnt(0)
	global_load_dword v1, v2, s[0:1]
	s_movk_i32 s0, 0xff
	v_cmp_gt_u32_e32 vcc, s0, v0
	s_mov_b32 s6, 0x60504
	s_branch .LBB76_2
.LBB76_1:                               ;   in Loop: Header=BB76_2 Depth=1
	s_or_b64 exec, exec, s[0:1]
	s_add_i32 s4, s4, -1
	s_cmp_lg_u32 s4, 0
	s_barrier
	s_cbranch_scc0 .LBB76_4
.LBB76_2:                               ; =>This Inner Loop Header: Depth=1
	s_waitcnt vmcnt(0)
	ds_write_b8 v0, v1
	v_perm_b32 v1, v1, v1, s5
	s_waitcnt lgkmcnt(0)
	s_barrier
	s_and_saveexec_b64 s[0:1], vcc
	s_cbranch_execz .LBB76_1
; %bb.3:                                ;   in Loop: Header=BB76_2 Depth=1
	ds_read_u8 v3, v0 offset:1
	s_waitcnt lgkmcnt(0)
	v_perm_b32 v1, v1, v3, s6
	s_branch .LBB76_1
.LBB76_4:
	v_mov_b32_e32 v0, s3
	v_add_co_u32_e32 v2, vcc, s2, v2
	v_addc_co_u32_e32 v3, vcc, 0, v0, vcc
	global_store_dword v[2:3], v1, off
	s_endpgm
	.section	.rodata,"a",@progbits
	.p2align	6, 0x0
	.amdhsa_kernel _Z6kernelI4downaLj256ELj4ELj100EEvPKT0_PS1_
		.amdhsa_group_segment_fixed_size 256
		.amdhsa_private_segment_fixed_size 0
		.amdhsa_kernarg_size 16
		.amdhsa_user_sgpr_count 6
		.amdhsa_user_sgpr_private_segment_buffer 1
		.amdhsa_user_sgpr_dispatch_ptr 0
		.amdhsa_user_sgpr_queue_ptr 0
		.amdhsa_user_sgpr_kernarg_segment_ptr 1
		.amdhsa_user_sgpr_dispatch_id 0
		.amdhsa_user_sgpr_flat_scratch_init 0
		.amdhsa_user_sgpr_private_segment_size 0
		.amdhsa_uses_dynamic_stack 0
		.amdhsa_system_sgpr_private_segment_wavefront_offset 0
		.amdhsa_system_sgpr_workgroup_id_x 1
		.amdhsa_system_sgpr_workgroup_id_y 0
		.amdhsa_system_sgpr_workgroup_id_z 0
		.amdhsa_system_sgpr_workgroup_info 0
		.amdhsa_system_vgpr_workitem_id 0
		.amdhsa_next_free_vgpr 4
		.amdhsa_next_free_sgpr 7
		.amdhsa_reserve_vcc 1
		.amdhsa_reserve_flat_scratch 0
		.amdhsa_float_round_mode_32 0
		.amdhsa_float_round_mode_16_64 0
		.amdhsa_float_denorm_mode_32 3
		.amdhsa_float_denorm_mode_16_64 3
		.amdhsa_dx10_clamp 1
		.amdhsa_ieee_mode 1
		.amdhsa_fp16_overflow 0
		.amdhsa_exception_fp_ieee_invalid_op 0
		.amdhsa_exception_fp_denorm_src 0
		.amdhsa_exception_fp_ieee_div_zero 0
		.amdhsa_exception_fp_ieee_overflow 0
		.amdhsa_exception_fp_ieee_underflow 0
		.amdhsa_exception_fp_ieee_inexact 0
		.amdhsa_exception_int_div_zero 0
	.end_amdhsa_kernel
	.section	.text._Z6kernelI4downaLj256ELj4ELj100EEvPKT0_PS1_,"axG",@progbits,_Z6kernelI4downaLj256ELj4ELj100EEvPKT0_PS1_,comdat
.Lfunc_end76:
	.size	_Z6kernelI4downaLj256ELj4ELj100EEvPKT0_PS1_, .Lfunc_end76-_Z6kernelI4downaLj256ELj4ELj100EEvPKT0_PS1_
                                        ; -- End function
	.set _Z6kernelI4downaLj256ELj4ELj100EEvPKT0_PS1_.num_vgpr, 4
	.set _Z6kernelI4downaLj256ELj4ELj100EEvPKT0_PS1_.num_agpr, 0
	.set _Z6kernelI4downaLj256ELj4ELj100EEvPKT0_PS1_.numbered_sgpr, 7
	.set _Z6kernelI4downaLj256ELj4ELj100EEvPKT0_PS1_.num_named_barrier, 0
	.set _Z6kernelI4downaLj256ELj4ELj100EEvPKT0_PS1_.private_seg_size, 0
	.set _Z6kernelI4downaLj256ELj4ELj100EEvPKT0_PS1_.uses_vcc, 1
	.set _Z6kernelI4downaLj256ELj4ELj100EEvPKT0_PS1_.uses_flat_scratch, 0
	.set _Z6kernelI4downaLj256ELj4ELj100EEvPKT0_PS1_.has_dyn_sized_stack, 0
	.set _Z6kernelI4downaLj256ELj4ELj100EEvPKT0_PS1_.has_recursion, 0
	.set _Z6kernelI4downaLj256ELj4ELj100EEvPKT0_PS1_.has_indirect_call, 0
	.section	.AMDGPU.csdata,"",@progbits
; Kernel info:
; codeLenInByte = 168
; TotalNumSgprs: 11
; NumVgprs: 4
; ScratchSize: 0
; MemoryBound: 0
; FloatMode: 240
; IeeeMode: 1
; LDSByteSize: 256 bytes/workgroup (compile time only)
; SGPRBlocks: 1
; VGPRBlocks: 0
; NumSGPRsForWavesPerEU: 11
; NumVGPRsForWavesPerEU: 4
; Occupancy: 10
; WaveLimiterHint : 0
; COMPUTE_PGM_RSRC2:SCRATCH_EN: 0
; COMPUTE_PGM_RSRC2:USER_SGPR: 6
; COMPUTE_PGM_RSRC2:TRAP_HANDLER: 0
; COMPUTE_PGM_RSRC2:TGID_X_EN: 1
; COMPUTE_PGM_RSRC2:TGID_Y_EN: 0
; COMPUTE_PGM_RSRC2:TGID_Z_EN: 0
; COMPUTE_PGM_RSRC2:TIDIG_COMP_CNT: 0
	.section	.text._Z6kernelI4downaLj256ELj8ELj100EEvPKT0_PS1_,"axG",@progbits,_Z6kernelI4downaLj256ELj8ELj100EEvPKT0_PS1_,comdat
	.protected	_Z6kernelI4downaLj256ELj8ELj100EEvPKT0_PS1_ ; -- Begin function _Z6kernelI4downaLj256ELj8ELj100EEvPKT0_PS1_
	.globl	_Z6kernelI4downaLj256ELj8ELj100EEvPKT0_PS1_
	.p2align	8
	.type	_Z6kernelI4downaLj256ELj8ELj100EEvPKT0_PS1_,@function
_Z6kernelI4downaLj256ELj8ELj100EEvPKT0_PS1_: ; @_Z6kernelI4downaLj256ELj8ELj100EEvPKT0_PS1_
; %bb.0:
	s_load_dwordx4 s[0:3], s[4:5], 0x0
	v_lshlrev_b32_e32 v1, 3, v0
	v_lshl_or_b32 v3, s6, 11, v1
	s_movk_i32 s4, 0x64
	s_mov_b32 s5, 0x70605
	s_waitcnt lgkmcnt(0)
	global_load_dwordx2 v[1:2], v3, s[0:1]
	s_movk_i32 s0, 0xff
	v_cmp_gt_u32_e32 vcc, s0, v0
	s_mov_b32 s6, 0x7070605
	s_mov_b32 s7, 0x3020104
	;; [unrolled: 1-line block ×3, first 2 shown]
	s_branch .LBB77_2
.LBB77_1:                               ;   in Loop: Header=BB77_2 Depth=1
	s_or_b64 exec, exec, s[0:1]
	s_add_i32 s4, s4, -1
	s_cmp_lg_u32 s4, 0
	s_barrier
	s_cbranch_scc0 .LBB77_4
.LBB77_2:                               ; =>This Inner Loop Header: Depth=1
	s_waitcnt vmcnt(0)
	ds_write_b8 v0, v1
	v_perm_b32 v1, v1, v2, s5
	v_perm_b32 v2, v2, v2, s6
	s_waitcnt lgkmcnt(0)
	s_barrier
	s_and_saveexec_b64 s[0:1], vcc
	s_cbranch_execz .LBB77_1
; %bb.3:                                ;   in Loop: Header=BB77_2 Depth=1
	ds_read_u8 v4, v0 offset:1
	v_perm_b32 v1, v1, v1, s7
	s_waitcnt lgkmcnt(0)
	v_perm_b32 v2, v2, v4, s8
	s_branch .LBB77_1
.LBB77_4:
	v_mov_b32_e32 v0, s3
	v_add_co_u32_e32 v3, vcc, s2, v3
	v_addc_co_u32_e32 v4, vcc, 0, v0, vcc
	global_store_dwordx2 v[3:4], v[1:2], off
	s_endpgm
	.section	.rodata,"a",@progbits
	.p2align	6, 0x0
	.amdhsa_kernel _Z6kernelI4downaLj256ELj8ELj100EEvPKT0_PS1_
		.amdhsa_group_segment_fixed_size 256
		.amdhsa_private_segment_fixed_size 0
		.amdhsa_kernarg_size 16
		.amdhsa_user_sgpr_count 6
		.amdhsa_user_sgpr_private_segment_buffer 1
		.amdhsa_user_sgpr_dispatch_ptr 0
		.amdhsa_user_sgpr_queue_ptr 0
		.amdhsa_user_sgpr_kernarg_segment_ptr 1
		.amdhsa_user_sgpr_dispatch_id 0
		.amdhsa_user_sgpr_flat_scratch_init 0
		.amdhsa_user_sgpr_private_segment_size 0
		.amdhsa_uses_dynamic_stack 0
		.amdhsa_system_sgpr_private_segment_wavefront_offset 0
		.amdhsa_system_sgpr_workgroup_id_x 1
		.amdhsa_system_sgpr_workgroup_id_y 0
		.amdhsa_system_sgpr_workgroup_id_z 0
		.amdhsa_system_sgpr_workgroup_info 0
		.amdhsa_system_vgpr_workitem_id 0
		.amdhsa_next_free_vgpr 5
		.amdhsa_next_free_sgpr 9
		.amdhsa_reserve_vcc 1
		.amdhsa_reserve_flat_scratch 0
		.amdhsa_float_round_mode_32 0
		.amdhsa_float_round_mode_16_64 0
		.amdhsa_float_denorm_mode_32 3
		.amdhsa_float_denorm_mode_16_64 3
		.amdhsa_dx10_clamp 1
		.amdhsa_ieee_mode 1
		.amdhsa_fp16_overflow 0
		.amdhsa_exception_fp_ieee_invalid_op 0
		.amdhsa_exception_fp_denorm_src 0
		.amdhsa_exception_fp_ieee_div_zero 0
		.amdhsa_exception_fp_ieee_overflow 0
		.amdhsa_exception_fp_ieee_underflow 0
		.amdhsa_exception_fp_ieee_inexact 0
		.amdhsa_exception_int_div_zero 0
	.end_amdhsa_kernel
	.section	.text._Z6kernelI4downaLj256ELj8ELj100EEvPKT0_PS1_,"axG",@progbits,_Z6kernelI4downaLj256ELj8ELj100EEvPKT0_PS1_,comdat
.Lfunc_end77:
	.size	_Z6kernelI4downaLj256ELj8ELj100EEvPKT0_PS1_, .Lfunc_end77-_Z6kernelI4downaLj256ELj8ELj100EEvPKT0_PS1_
                                        ; -- End function
	.set _Z6kernelI4downaLj256ELj8ELj100EEvPKT0_PS1_.num_vgpr, 5
	.set _Z6kernelI4downaLj256ELj8ELj100EEvPKT0_PS1_.num_agpr, 0
	.set _Z6kernelI4downaLj256ELj8ELj100EEvPKT0_PS1_.numbered_sgpr, 9
	.set _Z6kernelI4downaLj256ELj8ELj100EEvPKT0_PS1_.num_named_barrier, 0
	.set _Z6kernelI4downaLj256ELj8ELj100EEvPKT0_PS1_.private_seg_size, 0
	.set _Z6kernelI4downaLj256ELj8ELj100EEvPKT0_PS1_.uses_vcc, 1
	.set _Z6kernelI4downaLj256ELj8ELj100EEvPKT0_PS1_.uses_flat_scratch, 0
	.set _Z6kernelI4downaLj256ELj8ELj100EEvPKT0_PS1_.has_dyn_sized_stack, 0
	.set _Z6kernelI4downaLj256ELj8ELj100EEvPKT0_PS1_.has_recursion, 0
	.set _Z6kernelI4downaLj256ELj8ELj100EEvPKT0_PS1_.has_indirect_call, 0
	.section	.AMDGPU.csdata,"",@progbits
; Kernel info:
; codeLenInByte = 200
; TotalNumSgprs: 13
; NumVgprs: 5
; ScratchSize: 0
; MemoryBound: 0
; FloatMode: 240
; IeeeMode: 1
; LDSByteSize: 256 bytes/workgroup (compile time only)
; SGPRBlocks: 1
; VGPRBlocks: 1
; NumSGPRsForWavesPerEU: 13
; NumVGPRsForWavesPerEU: 5
; Occupancy: 10
; WaveLimiterHint : 0
; COMPUTE_PGM_RSRC2:SCRATCH_EN: 0
; COMPUTE_PGM_RSRC2:USER_SGPR: 6
; COMPUTE_PGM_RSRC2:TRAP_HANDLER: 0
; COMPUTE_PGM_RSRC2:TGID_X_EN: 1
; COMPUTE_PGM_RSRC2:TGID_Y_EN: 0
; COMPUTE_PGM_RSRC2:TGID_Z_EN: 0
; COMPUTE_PGM_RSRC2:TIDIG_COMP_CNT: 0
	.section	.text._Z6kernelI4downaLj256ELj16ELj100EEvPKT0_PS1_,"axG",@progbits,_Z6kernelI4downaLj256ELj16ELj100EEvPKT0_PS1_,comdat
	.protected	_Z6kernelI4downaLj256ELj16ELj100EEvPKT0_PS1_ ; -- Begin function _Z6kernelI4downaLj256ELj16ELj100EEvPKT0_PS1_
	.globl	_Z6kernelI4downaLj256ELj16ELj100EEvPKT0_PS1_
	.p2align	8
	.type	_Z6kernelI4downaLj256ELj16ELj100EEvPKT0_PS1_,@function
_Z6kernelI4downaLj256ELj16ELj100EEvPKT0_PS1_: ; @_Z6kernelI4downaLj256ELj16ELj100EEvPKT0_PS1_
; %bb.0:
	s_load_dwordx4 s[0:3], s[4:5], 0x0
	v_lshlrev_b32_e32 v1, 4, v0
	v_lshl_or_b32 v5, s6, 12, v1
	s_movk_i32 s4, 0x64
	s_mov_b32 s5, 0x70605
	s_waitcnt lgkmcnt(0)
	global_load_dwordx4 v[1:4], v5, s[0:1]
	s_movk_i32 s0, 0xff
	v_cmp_gt_u32_e32 vcc, s0, v0
	s_mov_b32 s6, 0x7070605
	s_mov_b32 s7, 0x60504
	s_branch .LBB78_2
.LBB78_1:                               ;   in Loop: Header=BB78_2 Depth=1
	s_or_b64 exec, exec, s[0:1]
	s_add_i32 s4, s4, -1
	s_cmp_lg_u32 s4, 0
	s_barrier
	s_cbranch_scc0 .LBB78_4
.LBB78_2:                               ; =>This Inner Loop Header: Depth=1
	s_waitcnt vmcnt(0)
	v_mov_b32_e32 v6, v3
	v_mov_b32_e32 v7, v2
	ds_write_b8 v0, v1
	v_perm_b32 v3, v6, v4, s5
	v_perm_b32 v2, v7, v6, s5
	;; [unrolled: 1-line block ×4, first 2 shown]
	s_waitcnt lgkmcnt(0)
	s_barrier
	s_and_saveexec_b64 s[0:1], vcc
	s_cbranch_execz .LBB78_1
; %bb.3:                                ;   in Loop: Header=BB78_2 Depth=1
	ds_read_u8 v6, v0 offset:1
	s_waitcnt lgkmcnt(0)
	v_perm_b32 v4, v4, v6, s7
	s_branch .LBB78_1
.LBB78_4:
	v_mov_b32_e32 v0, s3
	v_add_co_u32_e32 v5, vcc, s2, v5
	v_addc_co_u32_e32 v6, vcc, 0, v0, vcc
	global_store_dwordx4 v[5:6], v[1:4], off
	s_endpgm
	.section	.rodata,"a",@progbits
	.p2align	6, 0x0
	.amdhsa_kernel _Z6kernelI4downaLj256ELj16ELj100EEvPKT0_PS1_
		.amdhsa_group_segment_fixed_size 256
		.amdhsa_private_segment_fixed_size 0
		.amdhsa_kernarg_size 16
		.amdhsa_user_sgpr_count 6
		.amdhsa_user_sgpr_private_segment_buffer 1
		.amdhsa_user_sgpr_dispatch_ptr 0
		.amdhsa_user_sgpr_queue_ptr 0
		.amdhsa_user_sgpr_kernarg_segment_ptr 1
		.amdhsa_user_sgpr_dispatch_id 0
		.amdhsa_user_sgpr_flat_scratch_init 0
		.amdhsa_user_sgpr_private_segment_size 0
		.amdhsa_uses_dynamic_stack 0
		.amdhsa_system_sgpr_private_segment_wavefront_offset 0
		.amdhsa_system_sgpr_workgroup_id_x 1
		.amdhsa_system_sgpr_workgroup_id_y 0
		.amdhsa_system_sgpr_workgroup_id_z 0
		.amdhsa_system_sgpr_workgroup_info 0
		.amdhsa_system_vgpr_workitem_id 0
		.amdhsa_next_free_vgpr 8
		.amdhsa_next_free_sgpr 8
		.amdhsa_reserve_vcc 1
		.amdhsa_reserve_flat_scratch 0
		.amdhsa_float_round_mode_32 0
		.amdhsa_float_round_mode_16_64 0
		.amdhsa_float_denorm_mode_32 3
		.amdhsa_float_denorm_mode_16_64 3
		.amdhsa_dx10_clamp 1
		.amdhsa_ieee_mode 1
		.amdhsa_fp16_overflow 0
		.amdhsa_exception_fp_ieee_invalid_op 0
		.amdhsa_exception_fp_denorm_src 0
		.amdhsa_exception_fp_ieee_div_zero 0
		.amdhsa_exception_fp_ieee_overflow 0
		.amdhsa_exception_fp_ieee_underflow 0
		.amdhsa_exception_fp_ieee_inexact 0
		.amdhsa_exception_int_div_zero 0
	.end_amdhsa_kernel
	.section	.text._Z6kernelI4downaLj256ELj16ELj100EEvPKT0_PS1_,"axG",@progbits,_Z6kernelI4downaLj256ELj16ELj100EEvPKT0_PS1_,comdat
.Lfunc_end78:
	.size	_Z6kernelI4downaLj256ELj16ELj100EEvPKT0_PS1_, .Lfunc_end78-_Z6kernelI4downaLj256ELj16ELj100EEvPKT0_PS1_
                                        ; -- End function
	.set _Z6kernelI4downaLj256ELj16ELj100EEvPKT0_PS1_.num_vgpr, 8
	.set _Z6kernelI4downaLj256ELj16ELj100EEvPKT0_PS1_.num_agpr, 0
	.set _Z6kernelI4downaLj256ELj16ELj100EEvPKT0_PS1_.numbered_sgpr, 8
	.set _Z6kernelI4downaLj256ELj16ELj100EEvPKT0_PS1_.num_named_barrier, 0
	.set _Z6kernelI4downaLj256ELj16ELj100EEvPKT0_PS1_.private_seg_size, 0
	.set _Z6kernelI4downaLj256ELj16ELj100EEvPKT0_PS1_.uses_vcc, 1
	.set _Z6kernelI4downaLj256ELj16ELj100EEvPKT0_PS1_.uses_flat_scratch, 0
	.set _Z6kernelI4downaLj256ELj16ELj100EEvPKT0_PS1_.has_dyn_sized_stack, 0
	.set _Z6kernelI4downaLj256ELj16ELj100EEvPKT0_PS1_.has_recursion, 0
	.set _Z6kernelI4downaLj256ELj16ELj100EEvPKT0_PS1_.has_indirect_call, 0
	.section	.AMDGPU.csdata,"",@progbits
; Kernel info:
; codeLenInByte = 208
; TotalNumSgprs: 12
; NumVgprs: 8
; ScratchSize: 0
; MemoryBound: 0
; FloatMode: 240
; IeeeMode: 1
; LDSByteSize: 256 bytes/workgroup (compile time only)
; SGPRBlocks: 1
; VGPRBlocks: 1
; NumSGPRsForWavesPerEU: 12
; NumVGPRsForWavesPerEU: 8
; Occupancy: 10
; WaveLimiterHint : 0
; COMPUTE_PGM_RSRC2:SCRATCH_EN: 0
; COMPUTE_PGM_RSRC2:USER_SGPR: 6
; COMPUTE_PGM_RSRC2:TRAP_HANDLER: 0
; COMPUTE_PGM_RSRC2:TGID_X_EN: 1
; COMPUTE_PGM_RSRC2:TGID_Y_EN: 0
; COMPUTE_PGM_RSRC2:TGID_Z_EN: 0
; COMPUTE_PGM_RSRC2:TIDIG_COMP_CNT: 0
	.section	.text._Z6kernelI4downaLj256ELj32ELj100EEvPKT0_PS1_,"axG",@progbits,_Z6kernelI4downaLj256ELj32ELj100EEvPKT0_PS1_,comdat
	.protected	_Z6kernelI4downaLj256ELj32ELj100EEvPKT0_PS1_ ; -- Begin function _Z6kernelI4downaLj256ELj32ELj100EEvPKT0_PS1_
	.globl	_Z6kernelI4downaLj256ELj32ELj100EEvPKT0_PS1_
	.p2align	8
	.type	_Z6kernelI4downaLj256ELj32ELj100EEvPKT0_PS1_,@function
_Z6kernelI4downaLj256ELj32ELj100EEvPKT0_PS1_: ; @_Z6kernelI4downaLj256ELj32ELj100EEvPKT0_PS1_
; %bb.0:
	s_load_dwordx4 s[0:3], s[4:5], 0x0
	v_lshlrev_b32_e32 v1, 5, v0
	v_lshl_or_b32 v9, s6, 13, v1
	s_movk_i32 s4, 0x64
	s_mov_b32 s5, 0x70605
	s_waitcnt lgkmcnt(0)
	global_load_dwordx4 v[5:8], v9, s[0:1]
	global_load_dwordx4 v[1:4], v9, s[0:1] offset:16
	s_movk_i32 s0, 0xff
	v_cmp_gt_u32_e32 vcc, s0, v0
	s_mov_b32 s6, 0x7070605
	s_mov_b32 s7, 0x60504
	s_branch .LBB79_2
.LBB79_1:                               ;   in Loop: Header=BB79_2 Depth=1
	s_or_b64 exec, exec, s[0:1]
	s_add_i32 s4, s4, -1
	s_cmp_lg_u32 s4, 0
	s_barrier
	s_cbranch_scc0 .LBB79_4
.LBB79_2:                               ; =>This Inner Loop Header: Depth=1
	s_waitcnt vmcnt(0)
	v_mov_b32_e32 v10, v3
	v_mov_b32_e32 v11, v2
	;; [unrolled: 1-line block ×6, first 2 shown]
	ds_write_b8 v0, v5
	v_perm_b32 v3, v10, v4, s5
	v_perm_b32 v2, v11, v10, s5
	;; [unrolled: 1-line block ×8, first 2 shown]
	s_waitcnt lgkmcnt(0)
	s_barrier
	s_and_saveexec_b64 s[0:1], vcc
	s_cbranch_execz .LBB79_1
; %bb.3:                                ;   in Loop: Header=BB79_2 Depth=1
	ds_read_u8 v10, v0 offset:1
	s_waitcnt lgkmcnt(0)
	v_perm_b32 v4, v4, v10, s7
	s_branch .LBB79_1
.LBB79_4:
	v_mov_b32_e32 v0, s3
	v_add_co_u32_e32 v9, vcc, s2, v9
	v_addc_co_u32_e32 v10, vcc, 0, v0, vcc
	global_store_dwordx4 v[9:10], v[5:8], off
	global_store_dwordx4 v[9:10], v[1:4], off offset:16
	s_endpgm
	.section	.rodata,"a",@progbits
	.p2align	6, 0x0
	.amdhsa_kernel _Z6kernelI4downaLj256ELj32ELj100EEvPKT0_PS1_
		.amdhsa_group_segment_fixed_size 256
		.amdhsa_private_segment_fixed_size 0
		.amdhsa_kernarg_size 16
		.amdhsa_user_sgpr_count 6
		.amdhsa_user_sgpr_private_segment_buffer 1
		.amdhsa_user_sgpr_dispatch_ptr 0
		.amdhsa_user_sgpr_queue_ptr 0
		.amdhsa_user_sgpr_kernarg_segment_ptr 1
		.amdhsa_user_sgpr_dispatch_id 0
		.amdhsa_user_sgpr_flat_scratch_init 0
		.amdhsa_user_sgpr_private_segment_size 0
		.amdhsa_uses_dynamic_stack 0
		.amdhsa_system_sgpr_private_segment_wavefront_offset 0
		.amdhsa_system_sgpr_workgroup_id_x 1
		.amdhsa_system_sgpr_workgroup_id_y 0
		.amdhsa_system_sgpr_workgroup_id_z 0
		.amdhsa_system_sgpr_workgroup_info 0
		.amdhsa_system_vgpr_workitem_id 0
		.amdhsa_next_free_vgpr 16
		.amdhsa_next_free_sgpr 8
		.amdhsa_reserve_vcc 1
		.amdhsa_reserve_flat_scratch 0
		.amdhsa_float_round_mode_32 0
		.amdhsa_float_round_mode_16_64 0
		.amdhsa_float_denorm_mode_32 3
		.amdhsa_float_denorm_mode_16_64 3
		.amdhsa_dx10_clamp 1
		.amdhsa_ieee_mode 1
		.amdhsa_fp16_overflow 0
		.amdhsa_exception_fp_ieee_invalid_op 0
		.amdhsa_exception_fp_denorm_src 0
		.amdhsa_exception_fp_ieee_div_zero 0
		.amdhsa_exception_fp_ieee_overflow 0
		.amdhsa_exception_fp_ieee_underflow 0
		.amdhsa_exception_fp_ieee_inexact 0
		.amdhsa_exception_int_div_zero 0
	.end_amdhsa_kernel
	.section	.text._Z6kernelI4downaLj256ELj32ELj100EEvPKT0_PS1_,"axG",@progbits,_Z6kernelI4downaLj256ELj32ELj100EEvPKT0_PS1_,comdat
.Lfunc_end79:
	.size	_Z6kernelI4downaLj256ELj32ELj100EEvPKT0_PS1_, .Lfunc_end79-_Z6kernelI4downaLj256ELj32ELj100EEvPKT0_PS1_
                                        ; -- End function
	.set _Z6kernelI4downaLj256ELj32ELj100EEvPKT0_PS1_.num_vgpr, 16
	.set _Z6kernelI4downaLj256ELj32ELj100EEvPKT0_PS1_.num_agpr, 0
	.set _Z6kernelI4downaLj256ELj32ELj100EEvPKT0_PS1_.numbered_sgpr, 8
	.set _Z6kernelI4downaLj256ELj32ELj100EEvPKT0_PS1_.num_named_barrier, 0
	.set _Z6kernelI4downaLj256ELj32ELj100EEvPKT0_PS1_.private_seg_size, 0
	.set _Z6kernelI4downaLj256ELj32ELj100EEvPKT0_PS1_.uses_vcc, 1
	.set _Z6kernelI4downaLj256ELj32ELj100EEvPKT0_PS1_.uses_flat_scratch, 0
	.set _Z6kernelI4downaLj256ELj32ELj100EEvPKT0_PS1_.has_dyn_sized_stack, 0
	.set _Z6kernelI4downaLj256ELj32ELj100EEvPKT0_PS1_.has_recursion, 0
	.set _Z6kernelI4downaLj256ELj32ELj100EEvPKT0_PS1_.has_indirect_call, 0
	.section	.AMDGPU.csdata,"",@progbits
; Kernel info:
; codeLenInByte = 272
; TotalNumSgprs: 12
; NumVgprs: 16
; ScratchSize: 0
; MemoryBound: 0
; FloatMode: 240
; IeeeMode: 1
; LDSByteSize: 256 bytes/workgroup (compile time only)
; SGPRBlocks: 1
; VGPRBlocks: 3
; NumSGPRsForWavesPerEU: 12
; NumVGPRsForWavesPerEU: 16
; Occupancy: 10
; WaveLimiterHint : 0
; COMPUTE_PGM_RSRC2:SCRATCH_EN: 0
; COMPUTE_PGM_RSRC2:USER_SGPR: 6
; COMPUTE_PGM_RSRC2:TRAP_HANDLER: 0
; COMPUTE_PGM_RSRC2:TGID_X_EN: 1
; COMPUTE_PGM_RSRC2:TGID_Y_EN: 0
; COMPUTE_PGM_RSRC2:TGID_Z_EN: 0
; COMPUTE_PGM_RSRC2:TIDIG_COMP_CNT: 0
	.section	.text._Z6kernelI4downxLj256ELj1ELj100EEvPKT0_PS1_,"axG",@progbits,_Z6kernelI4downxLj256ELj1ELj100EEvPKT0_PS1_,comdat
	.protected	_Z6kernelI4downxLj256ELj1ELj100EEvPKT0_PS1_ ; -- Begin function _Z6kernelI4downxLj256ELj1ELj100EEvPKT0_PS1_
	.globl	_Z6kernelI4downxLj256ELj1ELj100EEvPKT0_PS1_
	.p2align	8
	.type	_Z6kernelI4downxLj256ELj1ELj100EEvPKT0_PS1_,@function
_Z6kernelI4downxLj256ELj1ELj100EEvPKT0_PS1_: ; @_Z6kernelI4downxLj256ELj1ELj100EEvPKT0_PS1_
; %bb.0:
	s_load_dwordx4 s[0:3], s[4:5], 0x0
	v_lshl_or_b32 v1, s6, 8, v0
	v_mov_b32_e32 v2, 0
	v_lshlrev_b64 v[1:2], 3, v[1:2]
	v_lshlrev_b32_e32 v5, 3, v0
	s_waitcnt lgkmcnt(0)
	v_mov_b32_e32 v4, s1
	v_add_co_u32_e32 v3, vcc, s0, v1
	v_addc_co_u32_e32 v4, vcc, v4, v2, vcc
	global_load_dwordx2 v[3:4], v[3:4], off
	s_movk_i32 s0, 0xff
	v_cmp_gt_u32_e32 vcc, s0, v0
	s_movk_i32 s4, 0x64
	s_branch .LBB80_2
.LBB80_1:                               ;   in Loop: Header=BB80_2 Depth=1
	s_or_b64 exec, exec, s[0:1]
	s_add_i32 s4, s4, -1
	s_cmp_lg_u32 s4, 0
	s_waitcnt lgkmcnt(0)
	s_barrier
	s_cbranch_scc0 .LBB80_4
.LBB80_2:                               ; =>This Inner Loop Header: Depth=1
	s_waitcnt vmcnt(0)
	ds_write_b64 v5, v[3:4]
	s_waitcnt lgkmcnt(0)
	s_barrier
	s_and_saveexec_b64 s[0:1], vcc
	s_cbranch_execz .LBB80_1
; %bb.3:                                ;   in Loop: Header=BB80_2 Depth=1
	ds_read_b64 v[3:4], v5 offset:8
	s_branch .LBB80_1
.LBB80_4:
	v_mov_b32_e32 v5, s3
	v_add_co_u32_e32 v0, vcc, s2, v1
	v_addc_co_u32_e32 v1, vcc, v5, v2, vcc
	global_store_dwordx2 v[0:1], v[3:4], off
	s_endpgm
	.section	.rodata,"a",@progbits
	.p2align	6, 0x0
	.amdhsa_kernel _Z6kernelI4downxLj256ELj1ELj100EEvPKT0_PS1_
		.amdhsa_group_segment_fixed_size 2048
		.amdhsa_private_segment_fixed_size 0
		.amdhsa_kernarg_size 16
		.amdhsa_user_sgpr_count 6
		.amdhsa_user_sgpr_private_segment_buffer 1
		.amdhsa_user_sgpr_dispatch_ptr 0
		.amdhsa_user_sgpr_queue_ptr 0
		.amdhsa_user_sgpr_kernarg_segment_ptr 1
		.amdhsa_user_sgpr_dispatch_id 0
		.amdhsa_user_sgpr_flat_scratch_init 0
		.amdhsa_user_sgpr_private_segment_size 0
		.amdhsa_uses_dynamic_stack 0
		.amdhsa_system_sgpr_private_segment_wavefront_offset 0
		.amdhsa_system_sgpr_workgroup_id_x 1
		.amdhsa_system_sgpr_workgroup_id_y 0
		.amdhsa_system_sgpr_workgroup_id_z 0
		.amdhsa_system_sgpr_workgroup_info 0
		.amdhsa_system_vgpr_workitem_id 0
		.amdhsa_next_free_vgpr 6
		.amdhsa_next_free_sgpr 7
		.amdhsa_reserve_vcc 1
		.amdhsa_reserve_flat_scratch 0
		.amdhsa_float_round_mode_32 0
		.amdhsa_float_round_mode_16_64 0
		.amdhsa_float_denorm_mode_32 3
		.amdhsa_float_denorm_mode_16_64 3
		.amdhsa_dx10_clamp 1
		.amdhsa_ieee_mode 1
		.amdhsa_fp16_overflow 0
		.amdhsa_exception_fp_ieee_invalid_op 0
		.amdhsa_exception_fp_denorm_src 0
		.amdhsa_exception_fp_ieee_div_zero 0
		.amdhsa_exception_fp_ieee_overflow 0
		.amdhsa_exception_fp_ieee_underflow 0
		.amdhsa_exception_fp_ieee_inexact 0
		.amdhsa_exception_int_div_zero 0
	.end_amdhsa_kernel
	.section	.text._Z6kernelI4downxLj256ELj1ELj100EEvPKT0_PS1_,"axG",@progbits,_Z6kernelI4downxLj256ELj1ELj100EEvPKT0_PS1_,comdat
.Lfunc_end80:
	.size	_Z6kernelI4downxLj256ELj1ELj100EEvPKT0_PS1_, .Lfunc_end80-_Z6kernelI4downxLj256ELj1ELj100EEvPKT0_PS1_
                                        ; -- End function
	.set _Z6kernelI4downxLj256ELj1ELj100EEvPKT0_PS1_.num_vgpr, 6
	.set _Z6kernelI4downxLj256ELj1ELj100EEvPKT0_PS1_.num_agpr, 0
	.set _Z6kernelI4downxLj256ELj1ELj100EEvPKT0_PS1_.numbered_sgpr, 7
	.set _Z6kernelI4downxLj256ELj1ELj100EEvPKT0_PS1_.num_named_barrier, 0
	.set _Z6kernelI4downxLj256ELj1ELj100EEvPKT0_PS1_.private_seg_size, 0
	.set _Z6kernelI4downxLj256ELj1ELj100EEvPKT0_PS1_.uses_vcc, 1
	.set _Z6kernelI4downxLj256ELj1ELj100EEvPKT0_PS1_.uses_flat_scratch, 0
	.set _Z6kernelI4downxLj256ELj1ELj100EEvPKT0_PS1_.has_dyn_sized_stack, 0
	.set _Z6kernelI4downxLj256ELj1ELj100EEvPKT0_PS1_.has_recursion, 0
	.set _Z6kernelI4downxLj256ELj1ELj100EEvPKT0_PS1_.has_indirect_call, 0
	.section	.AMDGPU.csdata,"",@progbits
; Kernel info:
; codeLenInByte = 160
; TotalNumSgprs: 11
; NumVgprs: 6
; ScratchSize: 0
; MemoryBound: 0
; FloatMode: 240
; IeeeMode: 1
; LDSByteSize: 2048 bytes/workgroup (compile time only)
; SGPRBlocks: 1
; VGPRBlocks: 1
; NumSGPRsForWavesPerEU: 11
; NumVGPRsForWavesPerEU: 6
; Occupancy: 10
; WaveLimiterHint : 0
; COMPUTE_PGM_RSRC2:SCRATCH_EN: 0
; COMPUTE_PGM_RSRC2:USER_SGPR: 6
; COMPUTE_PGM_RSRC2:TRAP_HANDLER: 0
; COMPUTE_PGM_RSRC2:TGID_X_EN: 1
; COMPUTE_PGM_RSRC2:TGID_Y_EN: 0
; COMPUTE_PGM_RSRC2:TGID_Z_EN: 0
; COMPUTE_PGM_RSRC2:TIDIG_COMP_CNT: 0
	.section	.text._Z6kernelI4downxLj256ELj3ELj100EEvPKT0_PS1_,"axG",@progbits,_Z6kernelI4downxLj256ELj3ELj100EEvPKT0_PS1_,comdat
	.protected	_Z6kernelI4downxLj256ELj3ELj100EEvPKT0_PS1_ ; -- Begin function _Z6kernelI4downxLj256ELj3ELj100EEvPKT0_PS1_
	.globl	_Z6kernelI4downxLj256ELj3ELj100EEvPKT0_PS1_
	.p2align	8
	.type	_Z6kernelI4downxLj256ELj3ELj100EEvPKT0_PS1_,@function
_Z6kernelI4downxLj256ELj3ELj100EEvPKT0_PS1_: ; @_Z6kernelI4downxLj256ELj3ELj100EEvPKT0_PS1_
; %bb.0:
	s_load_dwordx4 s[0:3], s[4:5], 0x0
	v_lshl_or_b32 v1, s6, 8, v0
	v_lshl_add_u32 v5, v1, 1, v1
	v_mov_b32_e32 v6, 0
	v_lshlrev_b64 v[1:2], 3, v[5:6]
	s_waitcnt lgkmcnt(0)
	v_mov_b32_e32 v3, s1
	v_add_co_u32_e32 v9, vcc, s0, v1
	v_addc_co_u32_e32 v10, vcc, v3, v2, vcc
	v_add_u32_e32 v3, 1, v5
	v_mov_b32_e32 v4, v6
	v_lshlrev_b64 v[3:4], 3, v[3:4]
	v_add_u32_e32 v5, 2, v5
	v_mov_b32_e32 v7, s1
	v_add_co_u32_e32 v15, vcc, s0, v3
	v_lshlrev_b64 v[5:6], 3, v[5:6]
	v_addc_co_u32_e32 v16, vcc, v7, v4, vcc
	v_add_co_u32_e32 v17, vcc, s0, v5
	v_addc_co_u32_e32 v18, vcc, v7, v6, vcc
	global_load_dwordx2 v[13:14], v[9:10], off
	global_load_dwordx2 v[7:8], v[17:18], off
	;; [unrolled: 1-line block ×3, first 2 shown]
	s_movk_i32 s0, 0xff
	v_lshlrev_b32_e32 v15, 3, v0
	v_cmp_gt_u32_e32 vcc, s0, v0
	s_movk_i32 s4, 0x64
	s_waitcnt vmcnt(1)
	v_mov_b32_e32 v10, v8
	v_mov_b32_e32 v9, v7
.LBB81_1:                               ; =>This Inner Loop Header: Depth=1
	ds_write_b64 v15, v[13:14]
	s_waitcnt vmcnt(0) lgkmcnt(0)
	s_barrier
	s_and_saveexec_b64 s[0:1], vcc
; %bb.2:                                ;   in Loop: Header=BB81_1 Depth=1
	ds_read_b64 v[9:10], v15 offset:8
; %bb.3:                                ;   in Loop: Header=BB81_1 Depth=1
	s_or_b64 exec, exec, s[0:1]
	s_add_i32 s4, s4, -1
	s_cmp_lg_u32 s4, 0
	s_waitcnt lgkmcnt(0)
	s_barrier
	s_cbranch_scc0 .LBB81_5
; %bb.4:                                ;   in Loop: Header=BB81_1 Depth=1
	v_mov_b32_e32 v14, v12
	v_mov_b32_e32 v13, v11
	;; [unrolled: 1-line block ×6, first 2 shown]
	s_branch .LBB81_1
.LBB81_5:
	v_mov_b32_e32 v13, s3
	v_add_co_u32_e32 v0, vcc, s2, v1
	v_addc_co_u32_e32 v1, vcc, v13, v2, vcc
	global_store_dwordx2 v[0:1], v[11:12], off
	v_mov_b32_e32 v1, s3
	v_add_co_u32_e32 v0, vcc, s2, v3
	v_addc_co_u32_e32 v1, vcc, v1, v4, vcc
	global_store_dwordx2 v[0:1], v[7:8], off
	;; [unrolled: 4-line block ×3, first 2 shown]
	s_endpgm
	.section	.rodata,"a",@progbits
	.p2align	6, 0x0
	.amdhsa_kernel _Z6kernelI4downxLj256ELj3ELj100EEvPKT0_PS1_
		.amdhsa_group_segment_fixed_size 2048
		.amdhsa_private_segment_fixed_size 0
		.amdhsa_kernarg_size 16
		.amdhsa_user_sgpr_count 6
		.amdhsa_user_sgpr_private_segment_buffer 1
		.amdhsa_user_sgpr_dispatch_ptr 0
		.amdhsa_user_sgpr_queue_ptr 0
		.amdhsa_user_sgpr_kernarg_segment_ptr 1
		.amdhsa_user_sgpr_dispatch_id 0
		.amdhsa_user_sgpr_flat_scratch_init 0
		.amdhsa_user_sgpr_private_segment_size 0
		.amdhsa_uses_dynamic_stack 0
		.amdhsa_system_sgpr_private_segment_wavefront_offset 0
		.amdhsa_system_sgpr_workgroup_id_x 1
		.amdhsa_system_sgpr_workgroup_id_y 0
		.amdhsa_system_sgpr_workgroup_id_z 0
		.amdhsa_system_sgpr_workgroup_info 0
		.amdhsa_system_vgpr_workitem_id 0
		.amdhsa_next_free_vgpr 19
		.amdhsa_next_free_sgpr 7
		.amdhsa_reserve_vcc 1
		.amdhsa_reserve_flat_scratch 0
		.amdhsa_float_round_mode_32 0
		.amdhsa_float_round_mode_16_64 0
		.amdhsa_float_denorm_mode_32 3
		.amdhsa_float_denorm_mode_16_64 3
		.amdhsa_dx10_clamp 1
		.amdhsa_ieee_mode 1
		.amdhsa_fp16_overflow 0
		.amdhsa_exception_fp_ieee_invalid_op 0
		.amdhsa_exception_fp_denorm_src 0
		.amdhsa_exception_fp_ieee_div_zero 0
		.amdhsa_exception_fp_ieee_overflow 0
		.amdhsa_exception_fp_ieee_underflow 0
		.amdhsa_exception_fp_ieee_inexact 0
		.amdhsa_exception_int_div_zero 0
	.end_amdhsa_kernel
	.section	.text._Z6kernelI4downxLj256ELj3ELj100EEvPKT0_PS1_,"axG",@progbits,_Z6kernelI4downxLj256ELj3ELj100EEvPKT0_PS1_,comdat
.Lfunc_end81:
	.size	_Z6kernelI4downxLj256ELj3ELj100EEvPKT0_PS1_, .Lfunc_end81-_Z6kernelI4downxLj256ELj3ELj100EEvPKT0_PS1_
                                        ; -- End function
	.set _Z6kernelI4downxLj256ELj3ELj100EEvPKT0_PS1_.num_vgpr, 19
	.set _Z6kernelI4downxLj256ELj3ELj100EEvPKT0_PS1_.num_agpr, 0
	.set _Z6kernelI4downxLj256ELj3ELj100EEvPKT0_PS1_.numbered_sgpr, 7
	.set _Z6kernelI4downxLj256ELj3ELj100EEvPKT0_PS1_.num_named_barrier, 0
	.set _Z6kernelI4downxLj256ELj3ELj100EEvPKT0_PS1_.private_seg_size, 0
	.set _Z6kernelI4downxLj256ELj3ELj100EEvPKT0_PS1_.uses_vcc, 1
	.set _Z6kernelI4downxLj256ELj3ELj100EEvPKT0_PS1_.uses_flat_scratch, 0
	.set _Z6kernelI4downxLj256ELj3ELj100EEvPKT0_PS1_.has_dyn_sized_stack, 0
	.set _Z6kernelI4downxLj256ELj3ELj100EEvPKT0_PS1_.has_recursion, 0
	.set _Z6kernelI4downxLj256ELj3ELj100EEvPKT0_PS1_.has_indirect_call, 0
	.section	.AMDGPU.csdata,"",@progbits
; Kernel info:
; codeLenInByte = 296
; TotalNumSgprs: 11
; NumVgprs: 19
; ScratchSize: 0
; MemoryBound: 0
; FloatMode: 240
; IeeeMode: 1
; LDSByteSize: 2048 bytes/workgroup (compile time only)
; SGPRBlocks: 1
; VGPRBlocks: 4
; NumSGPRsForWavesPerEU: 11
; NumVGPRsForWavesPerEU: 19
; Occupancy: 10
; WaveLimiterHint : 0
; COMPUTE_PGM_RSRC2:SCRATCH_EN: 0
; COMPUTE_PGM_RSRC2:USER_SGPR: 6
; COMPUTE_PGM_RSRC2:TRAP_HANDLER: 0
; COMPUTE_PGM_RSRC2:TGID_X_EN: 1
; COMPUTE_PGM_RSRC2:TGID_Y_EN: 0
; COMPUTE_PGM_RSRC2:TGID_Z_EN: 0
; COMPUTE_PGM_RSRC2:TIDIG_COMP_CNT: 0
	.section	.text._Z6kernelI4downxLj256ELj4ELj100EEvPKT0_PS1_,"axG",@progbits,_Z6kernelI4downxLj256ELj4ELj100EEvPKT0_PS1_,comdat
	.protected	_Z6kernelI4downxLj256ELj4ELj100EEvPKT0_PS1_ ; -- Begin function _Z6kernelI4downxLj256ELj4ELj100EEvPKT0_PS1_
	.globl	_Z6kernelI4downxLj256ELj4ELj100EEvPKT0_PS1_
	.p2align	8
	.type	_Z6kernelI4downxLj256ELj4ELj100EEvPKT0_PS1_,@function
_Z6kernelI4downxLj256ELj4ELj100EEvPKT0_PS1_: ; @_Z6kernelI4downxLj256ELj4ELj100EEvPKT0_PS1_
; %bb.0:
	s_load_dwordx4 s[0:3], s[4:5], 0x0
	v_lshlrev_b32_e32 v1, 2, v0
	v_lshl_or_b32 v1, s6, 10, v1
	v_mov_b32_e32 v2, 0
	v_lshlrev_b64 v[11:12], 3, v[1:2]
	s_waitcnt lgkmcnt(0)
	v_mov_b32_e32 v1, s1
	v_add_co_u32_e32 v9, vcc, s0, v11
	v_addc_co_u32_e32 v10, vcc, v1, v12, vcc
	global_load_dwordx4 v[1:4], v[9:10], off offset:16
	global_load_dwordx4 v[5:8], v[9:10], off
	s_movk_i32 s0, 0xff
	v_lshlrev_b32_e32 v13, 3, v0
	v_cmp_gt_u32_e32 vcc, s0, v0
	s_movk_i32 s4, 0x64
.LBB82_1:                               ; =>This Inner Loop Header: Depth=1
	s_waitcnt vmcnt(1)
	v_mov_b32_e32 v10, v4
	v_mov_b32_e32 v9, v3
	s_waitcnt vmcnt(0)
	ds_write_b64 v13, v[5:6]
	s_waitcnt lgkmcnt(0)
	s_barrier
	s_and_saveexec_b64 s[0:1], vcc
; %bb.2:                                ;   in Loop: Header=BB82_1 Depth=1
	ds_read_b64 v[9:10], v13 offset:8
; %bb.3:                                ;   in Loop: Header=BB82_1 Depth=1
	s_or_b64 exec, exec, s[0:1]
	s_add_i32 s4, s4, -1
	s_cmp_lg_u32 s4, 0
	s_waitcnt lgkmcnt(0)
	s_barrier
	s_cbranch_scc0 .LBB82_5
; %bb.4:                                ;   in Loop: Header=BB82_1 Depth=1
	v_mov_b32_e32 v5, v7
	v_mov_b32_e32 v6, v8
	;; [unrolled: 1-line block ×8, first 2 shown]
	s_branch .LBB82_1
.LBB82_5:
	v_mov_b32_e32 v0, s3
	v_add_co_u32_e32 v11, vcc, s2, v11
	v_addc_co_u32_e32 v12, vcc, v0, v12, vcc
	v_mov_b32_e32 v5, v7
	v_mov_b32_e32 v6, v8
	;; [unrolled: 1-line block ×4, first 2 shown]
	global_store_dwordx4 v[11:12], v[5:8], off
	s_nop 0
	v_mov_b32_e32 v7, v3
	v_mov_b32_e32 v8, v4
	global_store_dwordx4 v[11:12], v[7:10], off offset:16
	s_endpgm
	.section	.rodata,"a",@progbits
	.p2align	6, 0x0
	.amdhsa_kernel _Z6kernelI4downxLj256ELj4ELj100EEvPKT0_PS1_
		.amdhsa_group_segment_fixed_size 2048
		.amdhsa_private_segment_fixed_size 0
		.amdhsa_kernarg_size 16
		.amdhsa_user_sgpr_count 6
		.amdhsa_user_sgpr_private_segment_buffer 1
		.amdhsa_user_sgpr_dispatch_ptr 0
		.amdhsa_user_sgpr_queue_ptr 0
		.amdhsa_user_sgpr_kernarg_segment_ptr 1
		.amdhsa_user_sgpr_dispatch_id 0
		.amdhsa_user_sgpr_flat_scratch_init 0
		.amdhsa_user_sgpr_private_segment_size 0
		.amdhsa_uses_dynamic_stack 0
		.amdhsa_system_sgpr_private_segment_wavefront_offset 0
		.amdhsa_system_sgpr_workgroup_id_x 1
		.amdhsa_system_sgpr_workgroup_id_y 0
		.amdhsa_system_sgpr_workgroup_id_z 0
		.amdhsa_system_sgpr_workgroup_info 0
		.amdhsa_system_vgpr_workitem_id 0
		.amdhsa_next_free_vgpr 14
		.amdhsa_next_free_sgpr 7
		.amdhsa_reserve_vcc 1
		.amdhsa_reserve_flat_scratch 0
		.amdhsa_float_round_mode_32 0
		.amdhsa_float_round_mode_16_64 0
		.amdhsa_float_denorm_mode_32 3
		.amdhsa_float_denorm_mode_16_64 3
		.amdhsa_dx10_clamp 1
		.amdhsa_ieee_mode 1
		.amdhsa_fp16_overflow 0
		.amdhsa_exception_fp_ieee_invalid_op 0
		.amdhsa_exception_fp_denorm_src 0
		.amdhsa_exception_fp_ieee_div_zero 0
		.amdhsa_exception_fp_ieee_overflow 0
		.amdhsa_exception_fp_ieee_underflow 0
		.amdhsa_exception_fp_ieee_inexact 0
		.amdhsa_exception_int_div_zero 0
	.end_amdhsa_kernel
	.section	.text._Z6kernelI4downxLj256ELj4ELj100EEvPKT0_PS1_,"axG",@progbits,_Z6kernelI4downxLj256ELj4ELj100EEvPKT0_PS1_,comdat
.Lfunc_end82:
	.size	_Z6kernelI4downxLj256ELj4ELj100EEvPKT0_PS1_, .Lfunc_end82-_Z6kernelI4downxLj256ELj4ELj100EEvPKT0_PS1_
                                        ; -- End function
	.set _Z6kernelI4downxLj256ELj4ELj100EEvPKT0_PS1_.num_vgpr, 14
	.set _Z6kernelI4downxLj256ELj4ELj100EEvPKT0_PS1_.num_agpr, 0
	.set _Z6kernelI4downxLj256ELj4ELj100EEvPKT0_PS1_.numbered_sgpr, 7
	.set _Z6kernelI4downxLj256ELj4ELj100EEvPKT0_PS1_.num_named_barrier, 0
	.set _Z6kernelI4downxLj256ELj4ELj100EEvPKT0_PS1_.private_seg_size, 0
	.set _Z6kernelI4downxLj256ELj4ELj100EEvPKT0_PS1_.uses_vcc, 1
	.set _Z6kernelI4downxLj256ELj4ELj100EEvPKT0_PS1_.uses_flat_scratch, 0
	.set _Z6kernelI4downxLj256ELj4ELj100EEvPKT0_PS1_.has_dyn_sized_stack, 0
	.set _Z6kernelI4downxLj256ELj4ELj100EEvPKT0_PS1_.has_recursion, 0
	.set _Z6kernelI4downxLj256ELj4ELj100EEvPKT0_PS1_.has_indirect_call, 0
	.section	.AMDGPU.csdata,"",@progbits
; Kernel info:
; codeLenInByte = 244
; TotalNumSgprs: 11
; NumVgprs: 14
; ScratchSize: 0
; MemoryBound: 0
; FloatMode: 240
; IeeeMode: 1
; LDSByteSize: 2048 bytes/workgroup (compile time only)
; SGPRBlocks: 1
; VGPRBlocks: 3
; NumSGPRsForWavesPerEU: 11
; NumVGPRsForWavesPerEU: 14
; Occupancy: 10
; WaveLimiterHint : 0
; COMPUTE_PGM_RSRC2:SCRATCH_EN: 0
; COMPUTE_PGM_RSRC2:USER_SGPR: 6
; COMPUTE_PGM_RSRC2:TRAP_HANDLER: 0
; COMPUTE_PGM_RSRC2:TGID_X_EN: 1
; COMPUTE_PGM_RSRC2:TGID_Y_EN: 0
; COMPUTE_PGM_RSRC2:TGID_Z_EN: 0
; COMPUTE_PGM_RSRC2:TIDIG_COMP_CNT: 0
	.section	.text._Z6kernelI4downxLj256ELj8ELj100EEvPKT0_PS1_,"axG",@progbits,_Z6kernelI4downxLj256ELj8ELj100EEvPKT0_PS1_,comdat
	.protected	_Z6kernelI4downxLj256ELj8ELj100EEvPKT0_PS1_ ; -- Begin function _Z6kernelI4downxLj256ELj8ELj100EEvPKT0_PS1_
	.globl	_Z6kernelI4downxLj256ELj8ELj100EEvPKT0_PS1_
	.p2align	8
	.type	_Z6kernelI4downxLj256ELj8ELj100EEvPKT0_PS1_,@function
_Z6kernelI4downxLj256ELj8ELj100EEvPKT0_PS1_: ; @_Z6kernelI4downxLj256ELj8ELj100EEvPKT0_PS1_
; %bb.0:
	s_load_dwordx4 s[0:3], s[4:5], 0x0
	v_lshlrev_b32_e32 v19, 3, v0
	v_lshl_or_b32 v1, s6, 11, v19
	v_mov_b32_e32 v2, 0
	v_lshlrev_b64 v[21:22], 3, v[1:2]
	s_waitcnt lgkmcnt(0)
	v_mov_b32_e32 v1, s1
	v_add_co_u32_e32 v17, vcc, s0, v21
	v_addc_co_u32_e32 v18, vcc, v1, v22, vcc
	global_load_dwordx4 v[1:4], v[17:18], off offset:48
	global_load_dwordx4 v[5:8], v[17:18], off offset:32
	;; [unrolled: 1-line block ×3, first 2 shown]
	global_load_dwordx4 v[13:16], v[17:18], off
	s_movk_i32 s0, 0xff
	v_cmp_gt_u32_e32 vcc, s0, v0
	s_movk_i32 s4, 0x64
.LBB83_1:                               ; =>This Inner Loop Header: Depth=1
	s_waitcnt vmcnt(0)
	v_mov_b32_e32 v18, v16
	v_mov_b32_e32 v17, v15
	;; [unrolled: 1-line block ×14, first 2 shown]
	ds_write_b64 v19, v[13:14]
	s_waitcnt lgkmcnt(0)
	s_barrier
	s_and_saveexec_b64 s[0:1], vcc
; %bb.2:                                ;   in Loop: Header=BB83_1 Depth=1
	ds_read_b64 v[3:4], v19 offset:8
; %bb.3:                                ;   in Loop: Header=BB83_1 Depth=1
	s_or_b64 exec, exec, s[0:1]
	s_add_i32 s4, s4, -1
	s_cmp_lg_u32 s4, 0
	s_waitcnt lgkmcnt(0)
	s_barrier
	s_cbranch_scc0 .LBB83_5
; %bb.4:                                ;   in Loop: Header=BB83_1 Depth=1
	v_mov_b32_e32 v13, v17
	v_mov_b32_e32 v14, v18
	s_branch .LBB83_1
.LBB83_5:
	v_mov_b32_e32 v0, s3
	v_add_co_u32_e32 v13, vcc, s2, v21
	v_mov_b32_e32 v19, v15
	v_mov_b32_e32 v20, v16
	v_addc_co_u32_e32 v14, vcc, v0, v22, vcc
	global_store_dwordx4 v[13:14], v[17:20], off
	global_store_dwordx4 v[13:14], v[9:12], off offset:16
	global_store_dwordx4 v[13:14], v[5:8], off offset:32
	;; [unrolled: 1-line block ×3, first 2 shown]
	s_endpgm
	.section	.rodata,"a",@progbits
	.p2align	6, 0x0
	.amdhsa_kernel _Z6kernelI4downxLj256ELj8ELj100EEvPKT0_PS1_
		.amdhsa_group_segment_fixed_size 2048
		.amdhsa_private_segment_fixed_size 0
		.amdhsa_kernarg_size 16
		.amdhsa_user_sgpr_count 6
		.amdhsa_user_sgpr_private_segment_buffer 1
		.amdhsa_user_sgpr_dispatch_ptr 0
		.amdhsa_user_sgpr_queue_ptr 0
		.amdhsa_user_sgpr_kernarg_segment_ptr 1
		.amdhsa_user_sgpr_dispatch_id 0
		.amdhsa_user_sgpr_flat_scratch_init 0
		.amdhsa_user_sgpr_private_segment_size 0
		.amdhsa_uses_dynamic_stack 0
		.amdhsa_system_sgpr_private_segment_wavefront_offset 0
		.amdhsa_system_sgpr_workgroup_id_x 1
		.amdhsa_system_sgpr_workgroup_id_y 0
		.amdhsa_system_sgpr_workgroup_id_z 0
		.amdhsa_system_sgpr_workgroup_info 0
		.amdhsa_system_vgpr_workitem_id 0
		.amdhsa_next_free_vgpr 23
		.amdhsa_next_free_sgpr 7
		.amdhsa_reserve_vcc 1
		.amdhsa_reserve_flat_scratch 0
		.amdhsa_float_round_mode_32 0
		.amdhsa_float_round_mode_16_64 0
		.amdhsa_float_denorm_mode_32 3
		.amdhsa_float_denorm_mode_16_64 3
		.amdhsa_dx10_clamp 1
		.amdhsa_ieee_mode 1
		.amdhsa_fp16_overflow 0
		.amdhsa_exception_fp_ieee_invalid_op 0
		.amdhsa_exception_fp_denorm_src 0
		.amdhsa_exception_fp_ieee_div_zero 0
		.amdhsa_exception_fp_ieee_overflow 0
		.amdhsa_exception_fp_ieee_underflow 0
		.amdhsa_exception_fp_ieee_inexact 0
		.amdhsa_exception_int_div_zero 0
	.end_amdhsa_kernel
	.section	.text._Z6kernelI4downxLj256ELj8ELj100EEvPKT0_PS1_,"axG",@progbits,_Z6kernelI4downxLj256ELj8ELj100EEvPKT0_PS1_,comdat
.Lfunc_end83:
	.size	_Z6kernelI4downxLj256ELj8ELj100EEvPKT0_PS1_, .Lfunc_end83-_Z6kernelI4downxLj256ELj8ELj100EEvPKT0_PS1_
                                        ; -- End function
	.set _Z6kernelI4downxLj256ELj8ELj100EEvPKT0_PS1_.num_vgpr, 23
	.set _Z6kernelI4downxLj256ELj8ELj100EEvPKT0_PS1_.num_agpr, 0
	.set _Z6kernelI4downxLj256ELj8ELj100EEvPKT0_PS1_.numbered_sgpr, 7
	.set _Z6kernelI4downxLj256ELj8ELj100EEvPKT0_PS1_.num_named_barrier, 0
	.set _Z6kernelI4downxLj256ELj8ELj100EEvPKT0_PS1_.private_seg_size, 0
	.set _Z6kernelI4downxLj256ELj8ELj100EEvPKT0_PS1_.uses_vcc, 1
	.set _Z6kernelI4downxLj256ELj8ELj100EEvPKT0_PS1_.uses_flat_scratch, 0
	.set _Z6kernelI4downxLj256ELj8ELj100EEvPKT0_PS1_.has_dyn_sized_stack, 0
	.set _Z6kernelI4downxLj256ELj8ELj100EEvPKT0_PS1_.has_recursion, 0
	.set _Z6kernelI4downxLj256ELj8ELj100EEvPKT0_PS1_.has_indirect_call, 0
	.section	.AMDGPU.csdata,"",@progbits
; Kernel info:
; codeLenInByte = 272
; TotalNumSgprs: 11
; NumVgprs: 23
; ScratchSize: 0
; MemoryBound: 1
; FloatMode: 240
; IeeeMode: 1
; LDSByteSize: 2048 bytes/workgroup (compile time only)
; SGPRBlocks: 1
; VGPRBlocks: 5
; NumSGPRsForWavesPerEU: 11
; NumVGPRsForWavesPerEU: 23
; Occupancy: 10
; WaveLimiterHint : 0
; COMPUTE_PGM_RSRC2:SCRATCH_EN: 0
; COMPUTE_PGM_RSRC2:USER_SGPR: 6
; COMPUTE_PGM_RSRC2:TRAP_HANDLER: 0
; COMPUTE_PGM_RSRC2:TGID_X_EN: 1
; COMPUTE_PGM_RSRC2:TGID_Y_EN: 0
; COMPUTE_PGM_RSRC2:TGID_Z_EN: 0
; COMPUTE_PGM_RSRC2:TIDIG_COMP_CNT: 0
	.section	.text._Z6kernelI4downxLj256ELj16ELj100EEvPKT0_PS1_,"axG",@progbits,_Z6kernelI4downxLj256ELj16ELj100EEvPKT0_PS1_,comdat
	.protected	_Z6kernelI4downxLj256ELj16ELj100EEvPKT0_PS1_ ; -- Begin function _Z6kernelI4downxLj256ELj16ELj100EEvPKT0_PS1_
	.globl	_Z6kernelI4downxLj256ELj16ELj100EEvPKT0_PS1_
	.p2align	8
	.type	_Z6kernelI4downxLj256ELj16ELj100EEvPKT0_PS1_,@function
_Z6kernelI4downxLj256ELj16ELj100EEvPKT0_PS1_: ; @_Z6kernelI4downxLj256ELj16ELj100EEvPKT0_PS1_
; %bb.0:
	s_load_dwordx4 s[0:3], s[4:5], 0x0
	v_lshlrev_b32_e32 v1, 4, v0
	v_lshl_or_b32 v1, s6, 12, v1
	v_mov_b32_e32 v2, 0
	v_lshlrev_b64 v[37:38], 3, v[1:2]
	s_waitcnt lgkmcnt(0)
	v_mov_b32_e32 v1, s1
	v_add_co_u32_e32 v33, vcc, s0, v37
	v_addc_co_u32_e32 v34, vcc, v1, v38, vcc
	global_load_dwordx4 v[1:4], v[33:34], off offset:48
	global_load_dwordx4 v[5:8], v[33:34], off offset:32
	;; [unrolled: 1-line block ×3, first 2 shown]
	global_load_dwordx4 v[29:32], v[33:34], off
	global_load_dwordx4 v[9:12], v[33:34], off offset:112
	global_load_dwordx4 v[13:16], v[33:34], off offset:96
	;; [unrolled: 1-line block ×4, first 2 shown]
	s_movk_i32 s0, 0xff
	v_lshlrev_b32_e32 v35, 3, v0
	v_cmp_gt_u32_e32 vcc, s0, v0
	s_movk_i32 s4, 0x64
.LBB84_1:                               ; =>This Inner Loop Header: Depth=1
	s_waitcnt vmcnt(4)
	v_mov_b32_e32 v34, v32
	v_mov_b32_e32 v33, v31
	;; [unrolled: 1-line block ×14, first 2 shown]
	s_waitcnt vmcnt(0)
	v_mov_b32_e32 v3, v21
	v_mov_b32_e32 v4, v22
	;; [unrolled: 1-line block ×16, first 2 shown]
	ds_write_b64 v35, v[29:30]
	s_waitcnt lgkmcnt(0)
	s_barrier
	s_and_saveexec_b64 s[0:1], vcc
; %bb.2:                                ;   in Loop: Header=BB84_1 Depth=1
	ds_read_b64 v[11:12], v35 offset:8
; %bb.3:                                ;   in Loop: Header=BB84_1 Depth=1
	s_or_b64 exec, exec, s[0:1]
	s_add_i32 s4, s4, -1
	s_cmp_lg_u32 s4, 0
	s_waitcnt lgkmcnt(0)
	s_barrier
	s_cbranch_scc0 .LBB84_5
; %bb.4:                                ;   in Loop: Header=BB84_1 Depth=1
	v_mov_b32_e32 v29, v33
	v_mov_b32_e32 v30, v34
	s_branch .LBB84_1
.LBB84_5:
	v_mov_b32_e32 v0, s3
	v_add_co_u32_e32 v29, vcc, s2, v37
	v_mov_b32_e32 v35, v31
	v_mov_b32_e32 v36, v32
	v_addc_co_u32_e32 v30, vcc, v0, v38, vcc
	global_store_dwordx4 v[29:30], v[33:36], off
	global_store_dwordx4 v[29:30], v[25:28], off offset:16
	global_store_dwordx4 v[29:30], v[5:8], off offset:32
	;; [unrolled: 1-line block ×7, first 2 shown]
	s_endpgm
	.section	.rodata,"a",@progbits
	.p2align	6, 0x0
	.amdhsa_kernel _Z6kernelI4downxLj256ELj16ELj100EEvPKT0_PS1_
		.amdhsa_group_segment_fixed_size 2048
		.amdhsa_private_segment_fixed_size 0
		.amdhsa_kernarg_size 16
		.amdhsa_user_sgpr_count 6
		.amdhsa_user_sgpr_private_segment_buffer 1
		.amdhsa_user_sgpr_dispatch_ptr 0
		.amdhsa_user_sgpr_queue_ptr 0
		.amdhsa_user_sgpr_kernarg_segment_ptr 1
		.amdhsa_user_sgpr_dispatch_id 0
		.amdhsa_user_sgpr_flat_scratch_init 0
		.amdhsa_user_sgpr_private_segment_size 0
		.amdhsa_uses_dynamic_stack 0
		.amdhsa_system_sgpr_private_segment_wavefront_offset 0
		.amdhsa_system_sgpr_workgroup_id_x 1
		.amdhsa_system_sgpr_workgroup_id_y 0
		.amdhsa_system_sgpr_workgroup_id_z 0
		.amdhsa_system_sgpr_workgroup_info 0
		.amdhsa_system_vgpr_workitem_id 0
		.amdhsa_next_free_vgpr 39
		.amdhsa_next_free_sgpr 7
		.amdhsa_reserve_vcc 1
		.amdhsa_reserve_flat_scratch 0
		.amdhsa_float_round_mode_32 0
		.amdhsa_float_round_mode_16_64 0
		.amdhsa_float_denorm_mode_32 3
		.amdhsa_float_denorm_mode_16_64 3
		.amdhsa_dx10_clamp 1
		.amdhsa_ieee_mode 1
		.amdhsa_fp16_overflow 0
		.amdhsa_exception_fp_ieee_invalid_op 0
		.amdhsa_exception_fp_denorm_src 0
		.amdhsa_exception_fp_ieee_div_zero 0
		.amdhsa_exception_fp_ieee_overflow 0
		.amdhsa_exception_fp_ieee_underflow 0
		.amdhsa_exception_fp_ieee_inexact 0
		.amdhsa_exception_int_div_zero 0
	.end_amdhsa_kernel
	.section	.text._Z6kernelI4downxLj256ELj16ELj100EEvPKT0_PS1_,"axG",@progbits,_Z6kernelI4downxLj256ELj16ELj100EEvPKT0_PS1_,comdat
.Lfunc_end84:
	.size	_Z6kernelI4downxLj256ELj16ELj100EEvPKT0_PS1_, .Lfunc_end84-_Z6kernelI4downxLj256ELj16ELj100EEvPKT0_PS1_
                                        ; -- End function
	.set _Z6kernelI4downxLj256ELj16ELj100EEvPKT0_PS1_.num_vgpr, 39
	.set _Z6kernelI4downxLj256ELj16ELj100EEvPKT0_PS1_.num_agpr, 0
	.set _Z6kernelI4downxLj256ELj16ELj100EEvPKT0_PS1_.numbered_sgpr, 7
	.set _Z6kernelI4downxLj256ELj16ELj100EEvPKT0_PS1_.num_named_barrier, 0
	.set _Z6kernelI4downxLj256ELj16ELj100EEvPKT0_PS1_.private_seg_size, 0
	.set _Z6kernelI4downxLj256ELj16ELj100EEvPKT0_PS1_.uses_vcc, 1
	.set _Z6kernelI4downxLj256ELj16ELj100EEvPKT0_PS1_.uses_flat_scratch, 0
	.set _Z6kernelI4downxLj256ELj16ELj100EEvPKT0_PS1_.has_dyn_sized_stack, 0
	.set _Z6kernelI4downxLj256ELj16ELj100EEvPKT0_PS1_.has_recursion, 0
	.set _Z6kernelI4downxLj256ELj16ELj100EEvPKT0_PS1_.has_indirect_call, 0
	.section	.AMDGPU.csdata,"",@progbits
; Kernel info:
; codeLenInByte = 408
; TotalNumSgprs: 11
; NumVgprs: 39
; ScratchSize: 0
; MemoryBound: 1
; FloatMode: 240
; IeeeMode: 1
; LDSByteSize: 2048 bytes/workgroup (compile time only)
; SGPRBlocks: 1
; VGPRBlocks: 9
; NumSGPRsForWavesPerEU: 11
; NumVGPRsForWavesPerEU: 39
; Occupancy: 6
; WaveLimiterHint : 0
; COMPUTE_PGM_RSRC2:SCRATCH_EN: 0
; COMPUTE_PGM_RSRC2:USER_SGPR: 6
; COMPUTE_PGM_RSRC2:TRAP_HANDLER: 0
; COMPUTE_PGM_RSRC2:TGID_X_EN: 1
; COMPUTE_PGM_RSRC2:TGID_Y_EN: 0
; COMPUTE_PGM_RSRC2:TGID_Z_EN: 0
; COMPUTE_PGM_RSRC2:TIDIG_COMP_CNT: 0
	.section	.text._Z6kernelI4downxLj256ELj32ELj100EEvPKT0_PS1_,"axG",@progbits,_Z6kernelI4downxLj256ELj32ELj100EEvPKT0_PS1_,comdat
	.protected	_Z6kernelI4downxLj256ELj32ELj100EEvPKT0_PS1_ ; -- Begin function _Z6kernelI4downxLj256ELj32ELj100EEvPKT0_PS1_
	.globl	_Z6kernelI4downxLj256ELj32ELj100EEvPKT0_PS1_
	.p2align	8
	.type	_Z6kernelI4downxLj256ELj32ELj100EEvPKT0_PS1_,@function
_Z6kernelI4downxLj256ELj32ELj100EEvPKT0_PS1_: ; @_Z6kernelI4downxLj256ELj32ELj100EEvPKT0_PS1_
; %bb.0:
	s_load_dwordx4 s[0:3], s[4:5], 0x0
	v_lshlrev_b32_e32 v1, 5, v0
	v_lshl_or_b32 v1, s6, 13, v1
	v_mov_b32_e32 v2, 0
	v_lshlrev_b64 v[67:68], 3, v[1:2]
	s_waitcnt lgkmcnt(0)
	v_mov_b32_e32 v1, s1
	v_add_co_u32_e32 v25, vcc, s0, v67
	v_addc_co_u32_e32 v26, vcc, v1, v68, vcc
	global_load_dwordx4 v[1:4], v[25:26], off offset:48
	global_load_dwordx4 v[5:8], v[25:26], off offset:32
	;; [unrolled: 1-line block ×3, first 2 shown]
	global_load_dwordx4 v[61:64], v[25:26], off
	global_load_dwordx4 v[37:40], v[25:26], off offset:112
	global_load_dwordx4 v[45:48], v[25:26], off offset:96
	;; [unrolled: 1-line block ×11, first 2 shown]
	s_nop 0
	global_load_dwordx4 v[25:28], v[25:26], off offset:192
	s_movk_i32 s0, 0xff
	v_lshlrev_b32_e32 v69, 3, v0
	v_cmp_gt_u32_e32 vcc, s0, v0
	s_movk_i32 s4, 0x64
.LBB85_1:                               ; =>This Inner Loop Header: Depth=1
	s_waitcnt vmcnt(12)
	v_mov_b32_e32 v66, v64
	v_mov_b32_e32 v65, v63
	v_mov_b32_e32 v64, v58
	v_mov_b32_e32 v63, v57
	v_mov_b32_e32 v57, v59
	v_mov_b32_e32 v58, v60
	v_mov_b32_e32 v60, v6
	v_mov_b32_e32 v59, v5
	v_mov_b32_e32 v5, v7
	v_mov_b32_e32 v6, v8
	v_mov_b32_e32 v8, v2
	v_mov_b32_e32 v7, v1
	v_mov_b32_e32 v1, v3
	v_mov_b32_e32 v2, v4
	s_waitcnt vmcnt(8)
	v_mov_b32_e32 v3, v53
	v_mov_b32_e32 v4, v54
	v_mov_b32_e32 v53, v55
	v_mov_b32_e32 v54, v56
	v_mov_b32_e32 v56, v50
	v_mov_b32_e32 v55, v49
	v_mov_b32_e32 v49, v51
	v_mov_b32_e32 v50, v52
	v_mov_b32_e32 v52, v46
	v_mov_b32_e32 v51, v45
	v_mov_b32_e32 v45, v47
	v_mov_b32_e32 v46, v48
	v_mov_b32_e32 v48, v38
	v_mov_b32_e32 v47, v37
	v_mov_b32_e32 v37, v39
	v_mov_b32_e32 v38, v40
	s_waitcnt vmcnt(4)
	v_mov_b32_e32 v39, v41
	v_mov_b32_e32 v40, v42
	;; [unrolled: 17-line block ×3, first 2 shown]
	v_mov_b32_e32 v25, v27
	v_mov_b32_e32 v26, v28
	;; [unrolled: 1-line block ×14, first 2 shown]
	ds_write_b64 v69, v[61:62]
	s_waitcnt lgkmcnt(0)
	s_barrier
	s_and_saveexec_b64 s[0:1], vcc
; %bb.2:                                ;   in Loop: Header=BB85_1 Depth=1
	ds_read_b64 v[11:12], v69 offset:8
; %bb.3:                                ;   in Loop: Header=BB85_1 Depth=1
	s_or_b64 exec, exec, s[0:1]
	s_add_i32 s4, s4, -1
	s_cmp_lg_u32 s4, 0
	s_waitcnt lgkmcnt(0)
	s_barrier
	s_cbranch_scc0 .LBB85_5
; %bb.4:                                ;   in Loop: Header=BB85_1 Depth=1
	v_mov_b32_e32 v61, v65
	v_mov_b32_e32 v62, v66
	s_branch .LBB85_1
.LBB85_5:
	v_mov_b32_e32 v0, s3
	v_add_co_u32_e32 v61, vcc, s2, v67
	v_addc_co_u32_e32 v62, vcc, v0, v68, vcc
	v_mov_b32_e32 v67, v63
	v_mov_b32_e32 v68, v64
	global_store_dwordx4 v[61:62], v[65:68], off
	global_store_dwordx4 v[61:62], v[57:60], off offset:16
	global_store_dwordx4 v[61:62], v[5:8], off offset:32
	;; [unrolled: 1-line block ×15, first 2 shown]
	s_endpgm
	.section	.rodata,"a",@progbits
	.p2align	6, 0x0
	.amdhsa_kernel _Z6kernelI4downxLj256ELj32ELj100EEvPKT0_PS1_
		.amdhsa_group_segment_fixed_size 2048
		.amdhsa_private_segment_fixed_size 0
		.amdhsa_kernarg_size 16
		.amdhsa_user_sgpr_count 6
		.amdhsa_user_sgpr_private_segment_buffer 1
		.amdhsa_user_sgpr_dispatch_ptr 0
		.amdhsa_user_sgpr_queue_ptr 0
		.amdhsa_user_sgpr_kernarg_segment_ptr 1
		.amdhsa_user_sgpr_dispatch_id 0
		.amdhsa_user_sgpr_flat_scratch_init 0
		.amdhsa_user_sgpr_private_segment_size 0
		.amdhsa_uses_dynamic_stack 0
		.amdhsa_system_sgpr_private_segment_wavefront_offset 0
		.amdhsa_system_sgpr_workgroup_id_x 1
		.amdhsa_system_sgpr_workgroup_id_y 0
		.amdhsa_system_sgpr_workgroup_id_z 0
		.amdhsa_system_sgpr_workgroup_info 0
		.amdhsa_system_vgpr_workitem_id 0
		.amdhsa_next_free_vgpr 70
		.amdhsa_next_free_sgpr 7
		.amdhsa_reserve_vcc 1
		.amdhsa_reserve_flat_scratch 0
		.amdhsa_float_round_mode_32 0
		.amdhsa_float_round_mode_16_64 0
		.amdhsa_float_denorm_mode_32 3
		.amdhsa_float_denorm_mode_16_64 3
		.amdhsa_dx10_clamp 1
		.amdhsa_ieee_mode 1
		.amdhsa_fp16_overflow 0
		.amdhsa_exception_fp_ieee_invalid_op 0
		.amdhsa_exception_fp_denorm_src 0
		.amdhsa_exception_fp_ieee_div_zero 0
		.amdhsa_exception_fp_ieee_overflow 0
		.amdhsa_exception_fp_ieee_underflow 0
		.amdhsa_exception_fp_ieee_inexact 0
		.amdhsa_exception_int_div_zero 0
	.end_amdhsa_kernel
	.section	.text._Z6kernelI4downxLj256ELj32ELj100EEvPKT0_PS1_,"axG",@progbits,_Z6kernelI4downxLj256ELj32ELj100EEvPKT0_PS1_,comdat
.Lfunc_end85:
	.size	_Z6kernelI4downxLj256ELj32ELj100EEvPKT0_PS1_, .Lfunc_end85-_Z6kernelI4downxLj256ELj32ELj100EEvPKT0_PS1_
                                        ; -- End function
	.set _Z6kernelI4downxLj256ELj32ELj100EEvPKT0_PS1_.num_vgpr, 70
	.set _Z6kernelI4downxLj256ELj32ELj100EEvPKT0_PS1_.num_agpr, 0
	.set _Z6kernelI4downxLj256ELj32ELj100EEvPKT0_PS1_.numbered_sgpr, 7
	.set _Z6kernelI4downxLj256ELj32ELj100EEvPKT0_PS1_.num_named_barrier, 0
	.set _Z6kernelI4downxLj256ELj32ELj100EEvPKT0_PS1_.private_seg_size, 0
	.set _Z6kernelI4downxLj256ELj32ELj100EEvPKT0_PS1_.uses_vcc, 1
	.set _Z6kernelI4downxLj256ELj32ELj100EEvPKT0_PS1_.uses_flat_scratch, 0
	.set _Z6kernelI4downxLj256ELj32ELj100EEvPKT0_PS1_.has_dyn_sized_stack, 0
	.set _Z6kernelI4downxLj256ELj32ELj100EEvPKT0_PS1_.has_recursion, 0
	.set _Z6kernelI4downxLj256ELj32ELj100EEvPKT0_PS1_.has_indirect_call, 0
	.section	.AMDGPU.csdata,"",@progbits
; Kernel info:
; codeLenInByte = 676
; TotalNumSgprs: 11
; NumVgprs: 70
; ScratchSize: 0
; MemoryBound: 1
; FloatMode: 240
; IeeeMode: 1
; LDSByteSize: 2048 bytes/workgroup (compile time only)
; SGPRBlocks: 1
; VGPRBlocks: 17
; NumSGPRsForWavesPerEU: 11
; NumVGPRsForWavesPerEU: 70
; Occupancy: 3
; WaveLimiterHint : 0
; COMPUTE_PGM_RSRC2:SCRATCH_EN: 0
; COMPUTE_PGM_RSRC2:USER_SGPR: 6
; COMPUTE_PGM_RSRC2:TRAP_HANDLER: 0
; COMPUTE_PGM_RSRC2:TGID_X_EN: 1
; COMPUTE_PGM_RSRC2:TGID_Y_EN: 0
; COMPUTE_PGM_RSRC2:TGID_Z_EN: 0
; COMPUTE_PGM_RSRC2:TIDIG_COMP_CNT: 0
	.section	.text._Z6kernelI4downN15benchmark_utils11custom_typeIffEELj256ELj1ELj100EEvPKT0_PS4_,"axG",@progbits,_Z6kernelI4downN15benchmark_utils11custom_typeIffEELj256ELj1ELj100EEvPKT0_PS4_,comdat
	.protected	_Z6kernelI4downN15benchmark_utils11custom_typeIffEELj256ELj1ELj100EEvPKT0_PS4_ ; -- Begin function _Z6kernelI4downN15benchmark_utils11custom_typeIffEELj256ELj1ELj100EEvPKT0_PS4_
	.globl	_Z6kernelI4downN15benchmark_utils11custom_typeIffEELj256ELj1ELj100EEvPKT0_PS4_
	.p2align	8
	.type	_Z6kernelI4downN15benchmark_utils11custom_typeIffEELj256ELj1ELj100EEvPKT0_PS4_,@function
_Z6kernelI4downN15benchmark_utils11custom_typeIffEELj256ELj1ELj100EEvPKT0_PS4_: ; @_Z6kernelI4downN15benchmark_utils11custom_typeIffEELj256ELj1ELj100EEvPKT0_PS4_
; %bb.0:
	s_load_dwordx4 s[0:3], s[4:5], 0x0
	v_lshl_or_b32 v1, s6, 8, v0
	v_mov_b32_e32 v2, 0
	v_lshlrev_b64 v[1:2], 3, v[1:2]
	v_lshlrev_b32_e32 v5, 3, v0
	s_waitcnt lgkmcnt(0)
	v_mov_b32_e32 v4, s1
	v_add_co_u32_e32 v3, vcc, s0, v1
	v_addc_co_u32_e32 v4, vcc, v4, v2, vcc
	global_load_dwordx2 v[3:4], v[3:4], off
	s_movk_i32 s0, 0xff
	v_cmp_gt_u32_e32 vcc, s0, v0
	s_movk_i32 s4, 0x64
	s_branch .LBB86_2
.LBB86_1:                               ;   in Loop: Header=BB86_2 Depth=1
	s_or_b64 exec, exec, s[0:1]
	s_add_i32 s4, s4, -1
	s_cmp_lg_u32 s4, 0
	s_waitcnt lgkmcnt(0)
	s_barrier
	s_cbranch_scc0 .LBB86_4
.LBB86_2:                               ; =>This Inner Loop Header: Depth=1
	s_waitcnt vmcnt(0)
	ds_write2_b32 v5, v3, v4 offset1:1
	s_waitcnt lgkmcnt(0)
	s_barrier
	s_and_saveexec_b64 s[0:1], vcc
	s_cbranch_execz .LBB86_1
; %bb.3:                                ;   in Loop: Header=BB86_2 Depth=1
	ds_read2_b32 v[3:4], v5 offset0:2 offset1:3
	s_branch .LBB86_1
.LBB86_4:
	v_mov_b32_e32 v5, s3
	v_add_co_u32_e32 v0, vcc, s2, v1
	v_addc_co_u32_e32 v1, vcc, v5, v2, vcc
	global_store_dwordx2 v[0:1], v[3:4], off
	s_endpgm
	.section	.rodata,"a",@progbits
	.p2align	6, 0x0
	.amdhsa_kernel _Z6kernelI4downN15benchmark_utils11custom_typeIffEELj256ELj1ELj100EEvPKT0_PS4_
		.amdhsa_group_segment_fixed_size 2048
		.amdhsa_private_segment_fixed_size 0
		.amdhsa_kernarg_size 16
		.amdhsa_user_sgpr_count 6
		.amdhsa_user_sgpr_private_segment_buffer 1
		.amdhsa_user_sgpr_dispatch_ptr 0
		.amdhsa_user_sgpr_queue_ptr 0
		.amdhsa_user_sgpr_kernarg_segment_ptr 1
		.amdhsa_user_sgpr_dispatch_id 0
		.amdhsa_user_sgpr_flat_scratch_init 0
		.amdhsa_user_sgpr_private_segment_size 0
		.amdhsa_uses_dynamic_stack 0
		.amdhsa_system_sgpr_private_segment_wavefront_offset 0
		.amdhsa_system_sgpr_workgroup_id_x 1
		.amdhsa_system_sgpr_workgroup_id_y 0
		.amdhsa_system_sgpr_workgroup_id_z 0
		.amdhsa_system_sgpr_workgroup_info 0
		.amdhsa_system_vgpr_workitem_id 0
		.amdhsa_next_free_vgpr 6
		.amdhsa_next_free_sgpr 7
		.amdhsa_reserve_vcc 1
		.amdhsa_reserve_flat_scratch 0
		.amdhsa_float_round_mode_32 0
		.amdhsa_float_round_mode_16_64 0
		.amdhsa_float_denorm_mode_32 3
		.amdhsa_float_denorm_mode_16_64 3
		.amdhsa_dx10_clamp 1
		.amdhsa_ieee_mode 1
		.amdhsa_fp16_overflow 0
		.amdhsa_exception_fp_ieee_invalid_op 0
		.amdhsa_exception_fp_denorm_src 0
		.amdhsa_exception_fp_ieee_div_zero 0
		.amdhsa_exception_fp_ieee_overflow 0
		.amdhsa_exception_fp_ieee_underflow 0
		.amdhsa_exception_fp_ieee_inexact 0
		.amdhsa_exception_int_div_zero 0
	.end_amdhsa_kernel
	.section	.text._Z6kernelI4downN15benchmark_utils11custom_typeIffEELj256ELj1ELj100EEvPKT0_PS4_,"axG",@progbits,_Z6kernelI4downN15benchmark_utils11custom_typeIffEELj256ELj1ELj100EEvPKT0_PS4_,comdat
.Lfunc_end86:
	.size	_Z6kernelI4downN15benchmark_utils11custom_typeIffEELj256ELj1ELj100EEvPKT0_PS4_, .Lfunc_end86-_Z6kernelI4downN15benchmark_utils11custom_typeIffEELj256ELj1ELj100EEvPKT0_PS4_
                                        ; -- End function
	.set _Z6kernelI4downN15benchmark_utils11custom_typeIffEELj256ELj1ELj100EEvPKT0_PS4_.num_vgpr, 6
	.set _Z6kernelI4downN15benchmark_utils11custom_typeIffEELj256ELj1ELj100EEvPKT0_PS4_.num_agpr, 0
	.set _Z6kernelI4downN15benchmark_utils11custom_typeIffEELj256ELj1ELj100EEvPKT0_PS4_.numbered_sgpr, 7
	.set _Z6kernelI4downN15benchmark_utils11custom_typeIffEELj256ELj1ELj100EEvPKT0_PS4_.num_named_barrier, 0
	.set _Z6kernelI4downN15benchmark_utils11custom_typeIffEELj256ELj1ELj100EEvPKT0_PS4_.private_seg_size, 0
	.set _Z6kernelI4downN15benchmark_utils11custom_typeIffEELj256ELj1ELj100EEvPKT0_PS4_.uses_vcc, 1
	.set _Z6kernelI4downN15benchmark_utils11custom_typeIffEELj256ELj1ELj100EEvPKT0_PS4_.uses_flat_scratch, 0
	.set _Z6kernelI4downN15benchmark_utils11custom_typeIffEELj256ELj1ELj100EEvPKT0_PS4_.has_dyn_sized_stack, 0
	.set _Z6kernelI4downN15benchmark_utils11custom_typeIffEELj256ELj1ELj100EEvPKT0_PS4_.has_recursion, 0
	.set _Z6kernelI4downN15benchmark_utils11custom_typeIffEELj256ELj1ELj100EEvPKT0_PS4_.has_indirect_call, 0
	.section	.AMDGPU.csdata,"",@progbits
; Kernel info:
; codeLenInByte = 160
; TotalNumSgprs: 11
; NumVgprs: 6
; ScratchSize: 0
; MemoryBound: 0
; FloatMode: 240
; IeeeMode: 1
; LDSByteSize: 2048 bytes/workgroup (compile time only)
; SGPRBlocks: 1
; VGPRBlocks: 1
; NumSGPRsForWavesPerEU: 11
; NumVGPRsForWavesPerEU: 6
; Occupancy: 10
; WaveLimiterHint : 0
; COMPUTE_PGM_RSRC2:SCRATCH_EN: 0
; COMPUTE_PGM_RSRC2:USER_SGPR: 6
; COMPUTE_PGM_RSRC2:TRAP_HANDLER: 0
; COMPUTE_PGM_RSRC2:TGID_X_EN: 1
; COMPUTE_PGM_RSRC2:TGID_Y_EN: 0
; COMPUTE_PGM_RSRC2:TGID_Z_EN: 0
; COMPUTE_PGM_RSRC2:TIDIG_COMP_CNT: 0
	.section	.text._Z6kernelI4downN15benchmark_utils11custom_typeIffEELj256ELj3ELj100EEvPKT0_PS4_,"axG",@progbits,_Z6kernelI4downN15benchmark_utils11custom_typeIffEELj256ELj3ELj100EEvPKT0_PS4_,comdat
	.protected	_Z6kernelI4downN15benchmark_utils11custom_typeIffEELj256ELj3ELj100EEvPKT0_PS4_ ; -- Begin function _Z6kernelI4downN15benchmark_utils11custom_typeIffEELj256ELj3ELj100EEvPKT0_PS4_
	.globl	_Z6kernelI4downN15benchmark_utils11custom_typeIffEELj256ELj3ELj100EEvPKT0_PS4_
	.p2align	8
	.type	_Z6kernelI4downN15benchmark_utils11custom_typeIffEELj256ELj3ELj100EEvPKT0_PS4_,@function
_Z6kernelI4downN15benchmark_utils11custom_typeIffEELj256ELj3ELj100EEvPKT0_PS4_: ; @_Z6kernelI4downN15benchmark_utils11custom_typeIffEELj256ELj3ELj100EEvPKT0_PS4_
; %bb.0:
	s_load_dwordx4 s[0:3], s[4:5], 0x0
	v_lshl_or_b32 v1, s6, 8, v0
	v_lshl_add_u32 v5, v1, 1, v1
	v_mov_b32_e32 v6, 0
	v_lshlrev_b64 v[1:2], 3, v[5:6]
	s_waitcnt lgkmcnt(0)
	v_mov_b32_e32 v3, s1
	v_add_co_u32_e32 v13, vcc, s0, v1
	v_addc_co_u32_e32 v14, vcc, v3, v2, vcc
	v_add_u32_e32 v3, 1, v5
	v_mov_b32_e32 v4, v6
	v_lshlrev_b64 v[3:4], 3, v[3:4]
	v_add_u32_e32 v5, 2, v5
	v_mov_b32_e32 v7, s1
	v_add_co_u32_e32 v15, vcc, s0, v3
	v_lshlrev_b64 v[5:6], 3, v[5:6]
	v_addc_co_u32_e32 v16, vcc, v7, v4, vcc
	v_add_co_u32_e32 v17, vcc, s0, v5
	v_addc_co_u32_e32 v18, vcc, v7, v6, vcc
	global_load_dwordx2 v[11:12], v[13:14], off
	global_load_dwordx2 v[7:8], v[15:16], off
	;; [unrolled: 1-line block ×3, first 2 shown]
	s_movk_i32 s0, 0xff
	v_lshlrev_b32_e32 v13, 3, v0
	v_cmp_gt_u32_e32 vcc, s0, v0
	s_movk_i32 s4, 0x64
.LBB87_1:                               ; =>This Inner Loop Header: Depth=1
	s_waitcnt vmcnt(2)
	v_mov_b32_e32 v14, v12
	s_waitcnt vmcnt(1)
	v_mov_b32_e32 v0, v7
	v_mov_b32_e32 v12, v8
	s_waitcnt vmcnt(0)
	v_mov_b32_e32 v7, v9
	v_mov_b32_e32 v8, v10
	ds_write2_b32 v13, v11, v14 offset1:1
	s_waitcnt lgkmcnt(0)
	s_barrier
	s_and_saveexec_b64 s[0:1], vcc
; %bb.2:                                ;   in Loop: Header=BB87_1 Depth=1
	ds_read2_b32 v[9:10], v13 offset0:2 offset1:3
; %bb.3:                                ;   in Loop: Header=BB87_1 Depth=1
	s_or_b64 exec, exec, s[0:1]
	s_add_i32 s4, s4, -1
	s_cmp_lg_u32 s4, 0
	s_waitcnt lgkmcnt(0)
	s_barrier
	s_cbranch_scc0 .LBB87_5
; %bb.4:                                ;   in Loop: Header=BB87_1 Depth=1
	v_mov_b32_e32 v11, v0
	s_branch .LBB87_1
.LBB87_5:
	v_mov_b32_e32 v11, s3
	v_add_co_u32_e32 v13, vcc, s2, v1
	v_addc_co_u32_e32 v14, vcc, v11, v2, vcc
	v_mov_b32_e32 v1, v12
	global_store_dwordx2 v[13:14], v[0:1], off
	v_mov_b32_e32 v1, s3
	v_add_co_u32_e32 v0, vcc, s2, v3
	v_addc_co_u32_e32 v1, vcc, v1, v4, vcc
	global_store_dwordx2 v[0:1], v[7:8], off
	v_mov_b32_e32 v1, s3
	v_add_co_u32_e32 v0, vcc, s2, v5
	v_addc_co_u32_e32 v1, vcc, v1, v6, vcc
	global_store_dwordx2 v[0:1], v[9:10], off
	s_endpgm
	.section	.rodata,"a",@progbits
	.p2align	6, 0x0
	.amdhsa_kernel _Z6kernelI4downN15benchmark_utils11custom_typeIffEELj256ELj3ELj100EEvPKT0_PS4_
		.amdhsa_group_segment_fixed_size 2048
		.amdhsa_private_segment_fixed_size 0
		.amdhsa_kernarg_size 16
		.amdhsa_user_sgpr_count 6
		.amdhsa_user_sgpr_private_segment_buffer 1
		.amdhsa_user_sgpr_dispatch_ptr 0
		.amdhsa_user_sgpr_queue_ptr 0
		.amdhsa_user_sgpr_kernarg_segment_ptr 1
		.amdhsa_user_sgpr_dispatch_id 0
		.amdhsa_user_sgpr_flat_scratch_init 0
		.amdhsa_user_sgpr_private_segment_size 0
		.amdhsa_uses_dynamic_stack 0
		.amdhsa_system_sgpr_private_segment_wavefront_offset 0
		.amdhsa_system_sgpr_workgroup_id_x 1
		.amdhsa_system_sgpr_workgroup_id_y 0
		.amdhsa_system_sgpr_workgroup_id_z 0
		.amdhsa_system_sgpr_workgroup_info 0
		.amdhsa_system_vgpr_workitem_id 0
		.amdhsa_next_free_vgpr 19
		.amdhsa_next_free_sgpr 7
		.amdhsa_reserve_vcc 1
		.amdhsa_reserve_flat_scratch 0
		.amdhsa_float_round_mode_32 0
		.amdhsa_float_round_mode_16_64 0
		.amdhsa_float_denorm_mode_32 3
		.amdhsa_float_denorm_mode_16_64 3
		.amdhsa_dx10_clamp 1
		.amdhsa_ieee_mode 1
		.amdhsa_fp16_overflow 0
		.amdhsa_exception_fp_ieee_invalid_op 0
		.amdhsa_exception_fp_denorm_src 0
		.amdhsa_exception_fp_ieee_div_zero 0
		.amdhsa_exception_fp_ieee_overflow 0
		.amdhsa_exception_fp_ieee_underflow 0
		.amdhsa_exception_fp_ieee_inexact 0
		.amdhsa_exception_int_div_zero 0
	.end_amdhsa_kernel
	.section	.text._Z6kernelI4downN15benchmark_utils11custom_typeIffEELj256ELj3ELj100EEvPKT0_PS4_,"axG",@progbits,_Z6kernelI4downN15benchmark_utils11custom_typeIffEELj256ELj3ELj100EEvPKT0_PS4_,comdat
.Lfunc_end87:
	.size	_Z6kernelI4downN15benchmark_utils11custom_typeIffEELj256ELj3ELj100EEvPKT0_PS4_, .Lfunc_end87-_Z6kernelI4downN15benchmark_utils11custom_typeIffEELj256ELj3ELj100EEvPKT0_PS4_
                                        ; -- End function
	.set _Z6kernelI4downN15benchmark_utils11custom_typeIffEELj256ELj3ELj100EEvPKT0_PS4_.num_vgpr, 19
	.set _Z6kernelI4downN15benchmark_utils11custom_typeIffEELj256ELj3ELj100EEvPKT0_PS4_.num_agpr, 0
	.set _Z6kernelI4downN15benchmark_utils11custom_typeIffEELj256ELj3ELj100EEvPKT0_PS4_.numbered_sgpr, 7
	.set _Z6kernelI4downN15benchmark_utils11custom_typeIffEELj256ELj3ELj100EEvPKT0_PS4_.num_named_barrier, 0
	.set _Z6kernelI4downN15benchmark_utils11custom_typeIffEELj256ELj3ELj100EEvPKT0_PS4_.private_seg_size, 0
	.set _Z6kernelI4downN15benchmark_utils11custom_typeIffEELj256ELj3ELj100EEvPKT0_PS4_.uses_vcc, 1
	.set _Z6kernelI4downN15benchmark_utils11custom_typeIffEELj256ELj3ELj100EEvPKT0_PS4_.uses_flat_scratch, 0
	.set _Z6kernelI4downN15benchmark_utils11custom_typeIffEELj256ELj3ELj100EEvPKT0_PS4_.has_dyn_sized_stack, 0
	.set _Z6kernelI4downN15benchmark_utils11custom_typeIffEELj256ELj3ELj100EEvPKT0_PS4_.has_recursion, 0
	.set _Z6kernelI4downN15benchmark_utils11custom_typeIffEELj256ELj3ELj100EEvPKT0_PS4_.has_indirect_call, 0
	.section	.AMDGPU.csdata,"",@progbits
; Kernel info:
; codeLenInByte = 300
; TotalNumSgprs: 11
; NumVgprs: 19
; ScratchSize: 0
; MemoryBound: 0
; FloatMode: 240
; IeeeMode: 1
; LDSByteSize: 2048 bytes/workgroup (compile time only)
; SGPRBlocks: 1
; VGPRBlocks: 4
; NumSGPRsForWavesPerEU: 11
; NumVGPRsForWavesPerEU: 19
; Occupancy: 10
; WaveLimiterHint : 0
; COMPUTE_PGM_RSRC2:SCRATCH_EN: 0
; COMPUTE_PGM_RSRC2:USER_SGPR: 6
; COMPUTE_PGM_RSRC2:TRAP_HANDLER: 0
; COMPUTE_PGM_RSRC2:TGID_X_EN: 1
; COMPUTE_PGM_RSRC2:TGID_Y_EN: 0
; COMPUTE_PGM_RSRC2:TGID_Z_EN: 0
; COMPUTE_PGM_RSRC2:TIDIG_COMP_CNT: 0
	.section	.text._Z6kernelI4downN15benchmark_utils11custom_typeIffEELj256ELj4ELj100EEvPKT0_PS4_,"axG",@progbits,_Z6kernelI4downN15benchmark_utils11custom_typeIffEELj256ELj4ELj100EEvPKT0_PS4_,comdat
	.protected	_Z6kernelI4downN15benchmark_utils11custom_typeIffEELj256ELj4ELj100EEvPKT0_PS4_ ; -- Begin function _Z6kernelI4downN15benchmark_utils11custom_typeIffEELj256ELj4ELj100EEvPKT0_PS4_
	.globl	_Z6kernelI4downN15benchmark_utils11custom_typeIffEELj256ELj4ELj100EEvPKT0_PS4_
	.p2align	8
	.type	_Z6kernelI4downN15benchmark_utils11custom_typeIffEELj256ELj4ELj100EEvPKT0_PS4_,@function
_Z6kernelI4downN15benchmark_utils11custom_typeIffEELj256ELj4ELj100EEvPKT0_PS4_: ; @_Z6kernelI4downN15benchmark_utils11custom_typeIffEELj256ELj4ELj100EEvPKT0_PS4_
; %bb.0:
	s_load_dwordx4 s[0:3], s[4:5], 0x0
	v_lshlrev_b32_e32 v1, 2, v0
	v_lshl_or_b32 v1, s6, 10, v1
	v_mov_b32_e32 v2, 0
	v_lshlrev_b64 v[10:11], 3, v[1:2]
	s_waitcnt lgkmcnt(0)
	v_mov_b32_e32 v1, s1
	v_add_co_u32_e32 v12, vcc, s0, v10
	v_addc_co_u32_e32 v13, vcc, v1, v11, vcc
	global_load_dwordx4 v[5:8], v[12:13], off
	global_load_dwordx4 v[1:4], v[12:13], off offset:16
	s_movk_i32 s0, 0xff
	v_lshlrev_b32_e32 v12, 3, v0
	v_cmp_gt_u32_e32 vcc, s0, v0
	s_movk_i32 s4, 0x64
.LBB88_1:                               ; =>This Inner Loop Header: Depth=1
	s_waitcnt vmcnt(1)
	v_mov_b32_e32 v0, v6
	v_mov_b32_e32 v9, v7
	;; [unrolled: 1-line block ×3, first 2 shown]
	s_waitcnt vmcnt(0)
	v_mov_b32_e32 v7, v1
	v_mov_b32_e32 v8, v2
	;; [unrolled: 1-line block ×4, first 2 shown]
	ds_write2_b32 v12, v5, v0 offset1:1
	s_waitcnt lgkmcnt(0)
	s_barrier
	s_and_saveexec_b64 s[0:1], vcc
; %bb.2:                                ;   in Loop: Header=BB88_1 Depth=1
	ds_read2_b32 v[3:4], v12 offset0:2 offset1:3
; %bb.3:                                ;   in Loop: Header=BB88_1 Depth=1
	s_or_b64 exec, exec, s[0:1]
	s_add_i32 s4, s4, -1
	s_cmp_lg_u32 s4, 0
	s_waitcnt lgkmcnt(0)
	s_barrier
	s_cbranch_scc0 .LBB88_5
; %bb.4:                                ;   in Loop: Header=BB88_1 Depth=1
	v_mov_b32_e32 v5, v9
	s_branch .LBB88_1
.LBB88_5:
	v_mov_b32_e32 v0, s3
	v_add_co_u32_e32 v13, vcc, s2, v10
	v_addc_co_u32_e32 v14, vcc, v0, v11, vcc
	v_mov_b32_e32 v10, v6
	v_mov_b32_e32 v11, v7
	;; [unrolled: 1-line block ×3, first 2 shown]
	global_store_dwordx4 v[13:14], v[9:12], off
	global_store_dwordx4 v[13:14], v[1:4], off offset:16
	s_endpgm
	.section	.rodata,"a",@progbits
	.p2align	6, 0x0
	.amdhsa_kernel _Z6kernelI4downN15benchmark_utils11custom_typeIffEELj256ELj4ELj100EEvPKT0_PS4_
		.amdhsa_group_segment_fixed_size 2048
		.amdhsa_private_segment_fixed_size 0
		.amdhsa_kernarg_size 16
		.amdhsa_user_sgpr_count 6
		.amdhsa_user_sgpr_private_segment_buffer 1
		.amdhsa_user_sgpr_dispatch_ptr 0
		.amdhsa_user_sgpr_queue_ptr 0
		.amdhsa_user_sgpr_kernarg_segment_ptr 1
		.amdhsa_user_sgpr_dispatch_id 0
		.amdhsa_user_sgpr_flat_scratch_init 0
		.amdhsa_user_sgpr_private_segment_size 0
		.amdhsa_uses_dynamic_stack 0
		.amdhsa_system_sgpr_private_segment_wavefront_offset 0
		.amdhsa_system_sgpr_workgroup_id_x 1
		.amdhsa_system_sgpr_workgroup_id_y 0
		.amdhsa_system_sgpr_workgroup_id_z 0
		.amdhsa_system_sgpr_workgroup_info 0
		.amdhsa_system_vgpr_workitem_id 0
		.amdhsa_next_free_vgpr 15
		.amdhsa_next_free_sgpr 7
		.amdhsa_reserve_vcc 1
		.amdhsa_reserve_flat_scratch 0
		.amdhsa_float_round_mode_32 0
		.amdhsa_float_round_mode_16_64 0
		.amdhsa_float_denorm_mode_32 3
		.amdhsa_float_denorm_mode_16_64 3
		.amdhsa_dx10_clamp 1
		.amdhsa_ieee_mode 1
		.amdhsa_fp16_overflow 0
		.amdhsa_exception_fp_ieee_invalid_op 0
		.amdhsa_exception_fp_denorm_src 0
		.amdhsa_exception_fp_ieee_div_zero 0
		.amdhsa_exception_fp_ieee_overflow 0
		.amdhsa_exception_fp_ieee_underflow 0
		.amdhsa_exception_fp_ieee_inexact 0
		.amdhsa_exception_int_div_zero 0
	.end_amdhsa_kernel
	.section	.text._Z6kernelI4downN15benchmark_utils11custom_typeIffEELj256ELj4ELj100EEvPKT0_PS4_,"axG",@progbits,_Z6kernelI4downN15benchmark_utils11custom_typeIffEELj256ELj4ELj100EEvPKT0_PS4_,comdat
.Lfunc_end88:
	.size	_Z6kernelI4downN15benchmark_utils11custom_typeIffEELj256ELj4ELj100EEvPKT0_PS4_, .Lfunc_end88-_Z6kernelI4downN15benchmark_utils11custom_typeIffEELj256ELj4ELj100EEvPKT0_PS4_
                                        ; -- End function
	.set _Z6kernelI4downN15benchmark_utils11custom_typeIffEELj256ELj4ELj100EEvPKT0_PS4_.num_vgpr, 15
	.set _Z6kernelI4downN15benchmark_utils11custom_typeIffEELj256ELj4ELj100EEvPKT0_PS4_.num_agpr, 0
	.set _Z6kernelI4downN15benchmark_utils11custom_typeIffEELj256ELj4ELj100EEvPKT0_PS4_.numbered_sgpr, 7
	.set _Z6kernelI4downN15benchmark_utils11custom_typeIffEELj256ELj4ELj100EEvPKT0_PS4_.num_named_barrier, 0
	.set _Z6kernelI4downN15benchmark_utils11custom_typeIffEELj256ELj4ELj100EEvPKT0_PS4_.private_seg_size, 0
	.set _Z6kernelI4downN15benchmark_utils11custom_typeIffEELj256ELj4ELj100EEvPKT0_PS4_.uses_vcc, 1
	.set _Z6kernelI4downN15benchmark_utils11custom_typeIffEELj256ELj4ELj100EEvPKT0_PS4_.uses_flat_scratch, 0
	.set _Z6kernelI4downN15benchmark_utils11custom_typeIffEELj256ELj4ELj100EEvPKT0_PS4_.has_dyn_sized_stack, 0
	.set _Z6kernelI4downN15benchmark_utils11custom_typeIffEELj256ELj4ELj100EEvPKT0_PS4_.has_recursion, 0
	.set _Z6kernelI4downN15benchmark_utils11custom_typeIffEELj256ELj4ELj100EEvPKT0_PS4_.has_indirect_call, 0
	.section	.AMDGPU.csdata,"",@progbits
; Kernel info:
; codeLenInByte = 220
; TotalNumSgprs: 11
; NumVgprs: 15
; ScratchSize: 0
; MemoryBound: 0
; FloatMode: 240
; IeeeMode: 1
; LDSByteSize: 2048 bytes/workgroup (compile time only)
; SGPRBlocks: 1
; VGPRBlocks: 3
; NumSGPRsForWavesPerEU: 11
; NumVGPRsForWavesPerEU: 15
; Occupancy: 10
; WaveLimiterHint : 0
; COMPUTE_PGM_RSRC2:SCRATCH_EN: 0
; COMPUTE_PGM_RSRC2:USER_SGPR: 6
; COMPUTE_PGM_RSRC2:TRAP_HANDLER: 0
; COMPUTE_PGM_RSRC2:TGID_X_EN: 1
; COMPUTE_PGM_RSRC2:TGID_Y_EN: 0
; COMPUTE_PGM_RSRC2:TGID_Z_EN: 0
; COMPUTE_PGM_RSRC2:TIDIG_COMP_CNT: 0
	.section	.text._Z6kernelI4downN15benchmark_utils11custom_typeIffEELj256ELj8ELj100EEvPKT0_PS4_,"axG",@progbits,_Z6kernelI4downN15benchmark_utils11custom_typeIffEELj256ELj8ELj100EEvPKT0_PS4_,comdat
	.protected	_Z6kernelI4downN15benchmark_utils11custom_typeIffEELj256ELj8ELj100EEvPKT0_PS4_ ; -- Begin function _Z6kernelI4downN15benchmark_utils11custom_typeIffEELj256ELj8ELj100EEvPKT0_PS4_
	.globl	_Z6kernelI4downN15benchmark_utils11custom_typeIffEELj256ELj8ELj100EEvPKT0_PS4_
	.p2align	8
	.type	_Z6kernelI4downN15benchmark_utils11custom_typeIffEELj256ELj8ELj100EEvPKT0_PS4_,@function
_Z6kernelI4downN15benchmark_utils11custom_typeIffEELj256ELj8ELj100EEvPKT0_PS4_: ; @_Z6kernelI4downN15benchmark_utils11custom_typeIffEELj256ELj8ELj100EEvPKT0_PS4_
; %bb.0:
	s_load_dwordx4 s[0:3], s[4:5], 0x0
	v_lshlrev_b32_e32 v19, 3, v0
	v_lshl_or_b32 v1, s6, 11, v19
	v_mov_b32_e32 v2, 0
	v_lshlrev_b64 v[17:18], 3, v[1:2]
	s_waitcnt lgkmcnt(0)
	v_mov_b32_e32 v1, s1
	v_add_co_u32_e32 v20, vcc, s0, v17
	v_addc_co_u32_e32 v21, vcc, v1, v18, vcc
	global_load_dwordx4 v[13:16], v[20:21], off
	global_load_dwordx4 v[9:12], v[20:21], off offset:16
	global_load_dwordx4 v[5:8], v[20:21], off offset:32
	;; [unrolled: 1-line block ×3, first 2 shown]
	s_movk_i32 s0, 0xff
	v_cmp_gt_u32_e32 vcc, s0, v0
	s_movk_i32 s4, 0x64
	s_branch .LBB89_2
.LBB89_1:                               ;   in Loop: Header=BB89_2 Depth=1
	s_or_b64 exec, exec, s[0:1]
	s_add_i32 s4, s4, -1
	s_cmp_lg_u32 s4, 0
	s_waitcnt lgkmcnt(0)
	s_barrier
	s_cbranch_scc0 .LBB89_4
.LBB89_2:                               ; =>This Inner Loop Header: Depth=1
	s_waitcnt vmcnt(3)
	ds_write2_b32 v19, v13, v14 offset1:1
	v_mov_b32_e32 v13, v15
	v_mov_b32_e32 v14, v16
	s_waitcnt vmcnt(2)
	v_mov_b32_e32 v15, v9
	v_mov_b32_e32 v16, v10
	v_mov_b32_e32 v9, v11
	v_mov_b32_e32 v10, v12
	s_waitcnt vmcnt(1)
	v_mov_b32_e32 v11, v5
	v_mov_b32_e32 v12, v6
	;; [unrolled: 5-line block ×3, first 2 shown]
	v_mov_b32_e32 v1, v3
	v_mov_b32_e32 v2, v4
	s_waitcnt lgkmcnt(0)
	s_barrier
	s_and_saveexec_b64 s[0:1], vcc
	s_cbranch_execz .LBB89_1
; %bb.3:                                ;   in Loop: Header=BB89_2 Depth=1
	ds_read2_b32 v[3:4], v19 offset0:2 offset1:3
	s_branch .LBB89_1
.LBB89_4:
	v_mov_b32_e32 v0, s3
	v_add_co_u32_e32 v17, vcc, s2, v17
	v_addc_co_u32_e32 v18, vcc, v0, v18, vcc
	global_store_dwordx4 v[17:18], v[13:16], off
	global_store_dwordx4 v[17:18], v[9:12], off offset:16
	global_store_dwordx4 v[17:18], v[5:8], off offset:32
	;; [unrolled: 1-line block ×3, first 2 shown]
	s_endpgm
	.section	.rodata,"a",@progbits
	.p2align	6, 0x0
	.amdhsa_kernel _Z6kernelI4downN15benchmark_utils11custom_typeIffEELj256ELj8ELj100EEvPKT0_PS4_
		.amdhsa_group_segment_fixed_size 2048
		.amdhsa_private_segment_fixed_size 0
		.amdhsa_kernarg_size 16
		.amdhsa_user_sgpr_count 6
		.amdhsa_user_sgpr_private_segment_buffer 1
		.amdhsa_user_sgpr_dispatch_ptr 0
		.amdhsa_user_sgpr_queue_ptr 0
		.amdhsa_user_sgpr_kernarg_segment_ptr 1
		.amdhsa_user_sgpr_dispatch_id 0
		.amdhsa_user_sgpr_flat_scratch_init 0
		.amdhsa_user_sgpr_private_segment_size 0
		.amdhsa_uses_dynamic_stack 0
		.amdhsa_system_sgpr_private_segment_wavefront_offset 0
		.amdhsa_system_sgpr_workgroup_id_x 1
		.amdhsa_system_sgpr_workgroup_id_y 0
		.amdhsa_system_sgpr_workgroup_id_z 0
		.amdhsa_system_sgpr_workgroup_info 0
		.amdhsa_system_vgpr_workitem_id 0
		.amdhsa_next_free_vgpr 22
		.amdhsa_next_free_sgpr 7
		.amdhsa_reserve_vcc 1
		.amdhsa_reserve_flat_scratch 0
		.amdhsa_float_round_mode_32 0
		.amdhsa_float_round_mode_16_64 0
		.amdhsa_float_denorm_mode_32 3
		.amdhsa_float_denorm_mode_16_64 3
		.amdhsa_dx10_clamp 1
		.amdhsa_ieee_mode 1
		.amdhsa_fp16_overflow 0
		.amdhsa_exception_fp_ieee_invalid_op 0
		.amdhsa_exception_fp_denorm_src 0
		.amdhsa_exception_fp_ieee_div_zero 0
		.amdhsa_exception_fp_ieee_overflow 0
		.amdhsa_exception_fp_ieee_underflow 0
		.amdhsa_exception_fp_ieee_inexact 0
		.amdhsa_exception_int_div_zero 0
	.end_amdhsa_kernel
	.section	.text._Z6kernelI4downN15benchmark_utils11custom_typeIffEELj256ELj8ELj100EEvPKT0_PS4_,"axG",@progbits,_Z6kernelI4downN15benchmark_utils11custom_typeIffEELj256ELj8ELj100EEvPKT0_PS4_,comdat
.Lfunc_end89:
	.size	_Z6kernelI4downN15benchmark_utils11custom_typeIffEELj256ELj8ELj100EEvPKT0_PS4_, .Lfunc_end89-_Z6kernelI4downN15benchmark_utils11custom_typeIffEELj256ELj8ELj100EEvPKT0_PS4_
                                        ; -- End function
	.set _Z6kernelI4downN15benchmark_utils11custom_typeIffEELj256ELj8ELj100EEvPKT0_PS4_.num_vgpr, 22
	.set _Z6kernelI4downN15benchmark_utils11custom_typeIffEELj256ELj8ELj100EEvPKT0_PS4_.num_agpr, 0
	.set _Z6kernelI4downN15benchmark_utils11custom_typeIffEELj256ELj8ELj100EEvPKT0_PS4_.numbered_sgpr, 7
	.set _Z6kernelI4downN15benchmark_utils11custom_typeIffEELj256ELj8ELj100EEvPKT0_PS4_.num_named_barrier, 0
	.set _Z6kernelI4downN15benchmark_utils11custom_typeIffEELj256ELj8ELj100EEvPKT0_PS4_.private_seg_size, 0
	.set _Z6kernelI4downN15benchmark_utils11custom_typeIffEELj256ELj8ELj100EEvPKT0_PS4_.uses_vcc, 1
	.set _Z6kernelI4downN15benchmark_utils11custom_typeIffEELj256ELj8ELj100EEvPKT0_PS4_.uses_flat_scratch, 0
	.set _Z6kernelI4downN15benchmark_utils11custom_typeIffEELj256ELj8ELj100EEvPKT0_PS4_.has_dyn_sized_stack, 0
	.set _Z6kernelI4downN15benchmark_utils11custom_typeIffEELj256ELj8ELj100EEvPKT0_PS4_.has_recursion, 0
	.set _Z6kernelI4downN15benchmark_utils11custom_typeIffEELj256ELj8ELj100EEvPKT0_PS4_.has_indirect_call, 0
	.section	.AMDGPU.csdata,"",@progbits
; Kernel info:
; codeLenInByte = 276
; TotalNumSgprs: 11
; NumVgprs: 22
; ScratchSize: 0
; MemoryBound: 0
; FloatMode: 240
; IeeeMode: 1
; LDSByteSize: 2048 bytes/workgroup (compile time only)
; SGPRBlocks: 1
; VGPRBlocks: 5
; NumSGPRsForWavesPerEU: 11
; NumVGPRsForWavesPerEU: 22
; Occupancy: 10
; WaveLimiterHint : 0
; COMPUTE_PGM_RSRC2:SCRATCH_EN: 0
; COMPUTE_PGM_RSRC2:USER_SGPR: 6
; COMPUTE_PGM_RSRC2:TRAP_HANDLER: 0
; COMPUTE_PGM_RSRC2:TGID_X_EN: 1
; COMPUTE_PGM_RSRC2:TGID_Y_EN: 0
; COMPUTE_PGM_RSRC2:TGID_Z_EN: 0
; COMPUTE_PGM_RSRC2:TIDIG_COMP_CNT: 0
	.section	.text._Z6kernelI4downN15benchmark_utils11custom_typeIffEELj256ELj16ELj100EEvPKT0_PS4_,"axG",@progbits,_Z6kernelI4downN15benchmark_utils11custom_typeIffEELj256ELj16ELj100EEvPKT0_PS4_,comdat
	.protected	_Z6kernelI4downN15benchmark_utils11custom_typeIffEELj256ELj16ELj100EEvPKT0_PS4_ ; -- Begin function _Z6kernelI4downN15benchmark_utils11custom_typeIffEELj256ELj16ELj100EEvPKT0_PS4_
	.globl	_Z6kernelI4downN15benchmark_utils11custom_typeIffEELj256ELj16ELj100EEvPKT0_PS4_
	.p2align	8
	.type	_Z6kernelI4downN15benchmark_utils11custom_typeIffEELj256ELj16ELj100EEvPKT0_PS4_,@function
_Z6kernelI4downN15benchmark_utils11custom_typeIffEELj256ELj16ELj100EEvPKT0_PS4_: ; @_Z6kernelI4downN15benchmark_utils11custom_typeIffEELj256ELj16ELj100EEvPKT0_PS4_
; %bb.0:
	s_load_dwordx4 s[0:3], s[4:5], 0x0
	v_lshlrev_b32_e32 v1, 4, v0
	v_lshl_or_b32 v1, s6, 12, v1
	v_mov_b32_e32 v2, 0
	v_lshlrev_b64 v[33:34], 3, v[1:2]
	s_waitcnt lgkmcnt(0)
	v_mov_b32_e32 v1, s1
	v_add_co_u32_e32 v35, vcc, s0, v33
	v_addc_co_u32_e32 v36, vcc, v1, v34, vcc
	global_load_dwordx4 v[5:8], v[35:36], off
	global_load_dwordx4 v[1:4], v[35:36], off offset:16
	global_load_dwordx4 v[29:32], v[35:36], off offset:32
	;; [unrolled: 1-line block ×7, first 2 shown]
	s_movk_i32 s0, 0xff
	v_lshlrev_b32_e32 v35, 3, v0
	v_cmp_gt_u32_e32 vcc, s0, v0
	s_movk_i32 s4, 0x64
	s_branch .LBB90_2
.LBB90_1:                               ;   in Loop: Header=BB90_2 Depth=1
	s_or_b64 exec, exec, s[0:1]
	s_add_i32 s4, s4, -1
	s_cmp_lg_u32 s4, 0
	s_waitcnt lgkmcnt(0)
	s_barrier
	s_cbranch_scc0 .LBB90_4
.LBB90_2:                               ; =>This Inner Loop Header: Depth=1
	s_waitcnt vmcnt(7)
	ds_write2_b32 v35, v5, v6 offset1:1
	v_mov_b32_e32 v5, v7
	v_mov_b32_e32 v6, v8
	s_waitcnt vmcnt(6)
	v_mov_b32_e32 v7, v1
	v_mov_b32_e32 v8, v2
	v_mov_b32_e32 v1, v3
	v_mov_b32_e32 v2, v4
	s_waitcnt vmcnt(5)
	v_mov_b32_e32 v3, v29
	v_mov_b32_e32 v4, v30
	;; [unrolled: 5-line block ×7, first 2 shown]
	v_mov_b32_e32 v9, v11
	v_mov_b32_e32 v10, v12
	s_waitcnt lgkmcnt(0)
	s_barrier
	s_and_saveexec_b64 s[0:1], vcc
	s_cbranch_execz .LBB90_1
; %bb.3:                                ;   in Loop: Header=BB90_2 Depth=1
	ds_read2_b32 v[11:12], v35 offset0:2 offset1:3
	s_branch .LBB90_1
.LBB90_4:
	v_mov_b32_e32 v0, s3
	v_add_co_u32_e32 v33, vcc, s2, v33
	v_addc_co_u32_e32 v34, vcc, v0, v34, vcc
	global_store_dwordx4 v[33:34], v[5:8], off
	global_store_dwordx4 v[33:34], v[1:4], off offset:16
	global_store_dwordx4 v[33:34], v[29:32], off offset:32
	;; [unrolled: 1-line block ×7, first 2 shown]
	s_endpgm
	.section	.rodata,"a",@progbits
	.p2align	6, 0x0
	.amdhsa_kernel _Z6kernelI4downN15benchmark_utils11custom_typeIffEELj256ELj16ELj100EEvPKT0_PS4_
		.amdhsa_group_segment_fixed_size 2048
		.amdhsa_private_segment_fixed_size 0
		.amdhsa_kernarg_size 16
		.amdhsa_user_sgpr_count 6
		.amdhsa_user_sgpr_private_segment_buffer 1
		.amdhsa_user_sgpr_dispatch_ptr 0
		.amdhsa_user_sgpr_queue_ptr 0
		.amdhsa_user_sgpr_kernarg_segment_ptr 1
		.amdhsa_user_sgpr_dispatch_id 0
		.amdhsa_user_sgpr_flat_scratch_init 0
		.amdhsa_user_sgpr_private_segment_size 0
		.amdhsa_uses_dynamic_stack 0
		.amdhsa_system_sgpr_private_segment_wavefront_offset 0
		.amdhsa_system_sgpr_workgroup_id_x 1
		.amdhsa_system_sgpr_workgroup_id_y 0
		.amdhsa_system_sgpr_workgroup_id_z 0
		.amdhsa_system_sgpr_workgroup_info 0
		.amdhsa_system_vgpr_workitem_id 0
		.amdhsa_next_free_vgpr 37
		.amdhsa_next_free_sgpr 7
		.amdhsa_reserve_vcc 1
		.amdhsa_reserve_flat_scratch 0
		.amdhsa_float_round_mode_32 0
		.amdhsa_float_round_mode_16_64 0
		.amdhsa_float_denorm_mode_32 3
		.amdhsa_float_denorm_mode_16_64 3
		.amdhsa_dx10_clamp 1
		.amdhsa_ieee_mode 1
		.amdhsa_fp16_overflow 0
		.amdhsa_exception_fp_ieee_invalid_op 0
		.amdhsa_exception_fp_denorm_src 0
		.amdhsa_exception_fp_ieee_div_zero 0
		.amdhsa_exception_fp_ieee_overflow 0
		.amdhsa_exception_fp_ieee_underflow 0
		.amdhsa_exception_fp_ieee_inexact 0
		.amdhsa_exception_int_div_zero 0
	.end_amdhsa_kernel
	.section	.text._Z6kernelI4downN15benchmark_utils11custom_typeIffEELj256ELj16ELj100EEvPKT0_PS4_,"axG",@progbits,_Z6kernelI4downN15benchmark_utils11custom_typeIffEELj256ELj16ELj100EEvPKT0_PS4_,comdat
.Lfunc_end90:
	.size	_Z6kernelI4downN15benchmark_utils11custom_typeIffEELj256ELj16ELj100EEvPKT0_PS4_, .Lfunc_end90-_Z6kernelI4downN15benchmark_utils11custom_typeIffEELj256ELj16ELj100EEvPKT0_PS4_
                                        ; -- End function
	.set _Z6kernelI4downN15benchmark_utils11custom_typeIffEELj256ELj16ELj100EEvPKT0_PS4_.num_vgpr, 37
	.set _Z6kernelI4downN15benchmark_utils11custom_typeIffEELj256ELj16ELj100EEvPKT0_PS4_.num_agpr, 0
	.set _Z6kernelI4downN15benchmark_utils11custom_typeIffEELj256ELj16ELj100EEvPKT0_PS4_.numbered_sgpr, 7
	.set _Z6kernelI4downN15benchmark_utils11custom_typeIffEELj256ELj16ELj100EEvPKT0_PS4_.num_named_barrier, 0
	.set _Z6kernelI4downN15benchmark_utils11custom_typeIffEELj256ELj16ELj100EEvPKT0_PS4_.private_seg_size, 0
	.set _Z6kernelI4downN15benchmark_utils11custom_typeIffEELj256ELj16ELj100EEvPKT0_PS4_.uses_vcc, 1
	.set _Z6kernelI4downN15benchmark_utils11custom_typeIffEELj256ELj16ELj100EEvPKT0_PS4_.uses_flat_scratch, 0
	.set _Z6kernelI4downN15benchmark_utils11custom_typeIffEELj256ELj16ELj100EEvPKT0_PS4_.has_dyn_sized_stack, 0
	.set _Z6kernelI4downN15benchmark_utils11custom_typeIffEELj256ELj16ELj100EEvPKT0_PS4_.has_recursion, 0
	.set _Z6kernelI4downN15benchmark_utils11custom_typeIffEELj256ELj16ELj100EEvPKT0_PS4_.has_indirect_call, 0
	.section	.AMDGPU.csdata,"",@progbits
; Kernel info:
; codeLenInByte = 424
; TotalNumSgprs: 11
; NumVgprs: 37
; ScratchSize: 0
; MemoryBound: 1
; FloatMode: 240
; IeeeMode: 1
; LDSByteSize: 2048 bytes/workgroup (compile time only)
; SGPRBlocks: 1
; VGPRBlocks: 9
; NumSGPRsForWavesPerEU: 11
; NumVGPRsForWavesPerEU: 37
; Occupancy: 6
; WaveLimiterHint : 0
; COMPUTE_PGM_RSRC2:SCRATCH_EN: 0
; COMPUTE_PGM_RSRC2:USER_SGPR: 6
; COMPUTE_PGM_RSRC2:TRAP_HANDLER: 0
; COMPUTE_PGM_RSRC2:TGID_X_EN: 1
; COMPUTE_PGM_RSRC2:TGID_Y_EN: 0
; COMPUTE_PGM_RSRC2:TGID_Z_EN: 0
; COMPUTE_PGM_RSRC2:TIDIG_COMP_CNT: 0
	.section	.text._Z6kernelI4downN15benchmark_utils11custom_typeIffEELj256ELj32ELj100EEvPKT0_PS4_,"axG",@progbits,_Z6kernelI4downN15benchmark_utils11custom_typeIffEELj256ELj32ELj100EEvPKT0_PS4_,comdat
	.protected	_Z6kernelI4downN15benchmark_utils11custom_typeIffEELj256ELj32ELj100EEvPKT0_PS4_ ; -- Begin function _Z6kernelI4downN15benchmark_utils11custom_typeIffEELj256ELj32ELj100EEvPKT0_PS4_
	.globl	_Z6kernelI4downN15benchmark_utils11custom_typeIffEELj256ELj32ELj100EEvPKT0_PS4_
	.p2align	8
	.type	_Z6kernelI4downN15benchmark_utils11custom_typeIffEELj256ELj32ELj100EEvPKT0_PS4_,@function
_Z6kernelI4downN15benchmark_utils11custom_typeIffEELj256ELj32ELj100EEvPKT0_PS4_: ; @_Z6kernelI4downN15benchmark_utils11custom_typeIffEELj256ELj32ELj100EEvPKT0_PS4_
; %bb.0:
	s_load_dwordx4 s[0:3], s[4:5], 0x0
	v_lshlrev_b32_e32 v1, 5, v0
	v_lshl_or_b32 v1, s6, 13, v1
	v_mov_b32_e32 v2, 0
	v_lshlrev_b64 v[66:67], 3, v[1:2]
	s_waitcnt lgkmcnt(0)
	v_mov_b32_e32 v1, s1
	v_add_co_u32_e32 v9, vcc, s0, v66
	v_addc_co_u32_e32 v10, vcc, v1, v67, vcc
	global_load_dwordx4 v[5:8], v[9:10], off
	global_load_dwordx4 v[1:4], v[9:10], off offset:16
	global_load_dwordx4 v[61:64], v[9:10], off offset:32
	;; [unrolled: 1-line block ×14, first 2 shown]
	s_nop 0
	global_load_dwordx4 v[9:12], v[9:10], off offset:240
	s_movk_i32 s0, 0xff
	v_lshlrev_b32_e32 v68, 3, v0
	v_cmp_gt_u32_e32 vcc, s0, v0
	s_movk_i32 s4, 0x64
.LBB91_1:                               ; =>This Inner Loop Header: Depth=1
	s_waitcnt vmcnt(15)
	v_mov_b32_e32 v0, v6
	v_mov_b32_e32 v65, v7
	v_mov_b32_e32 v6, v8
	s_waitcnt vmcnt(14)
	v_mov_b32_e32 v7, v1
	v_mov_b32_e32 v8, v2
	v_mov_b32_e32 v1, v3
	v_mov_b32_e32 v2, v4
	s_waitcnt vmcnt(13)
	v_mov_b32_e32 v3, v61
	;; [unrolled: 5-line block ×15, first 2 shown]
	v_mov_b32_e32 v16, v10
	v_mov_b32_e32 v9, v11
	v_mov_b32_e32 v10, v12
	ds_write2_b32 v68, v5, v0 offset1:1
	s_waitcnt lgkmcnt(0)
	s_barrier
	s_and_saveexec_b64 s[0:1], vcc
; %bb.2:                                ;   in Loop: Header=BB91_1 Depth=1
	ds_read2_b32 v[11:12], v68 offset0:2 offset1:3
; %bb.3:                                ;   in Loop: Header=BB91_1 Depth=1
	s_or_b64 exec, exec, s[0:1]
	s_add_i32 s4, s4, -1
	s_cmp_lg_u32 s4, 0
	s_waitcnt lgkmcnt(0)
	s_barrier
	s_cbranch_scc0 .LBB91_5
; %bb.4:                                ;   in Loop: Header=BB91_1 Depth=1
	v_mov_b32_e32 v5, v65
	s_branch .LBB91_1
.LBB91_5:
	v_mov_b32_e32 v0, s3
	v_add_co_u32_e32 v69, vcc, s2, v66
	v_addc_co_u32_e32 v70, vcc, v0, v67, vcc
	v_mov_b32_e32 v66, v6
	v_mov_b32_e32 v67, v7
	v_mov_b32_e32 v68, v8
	global_store_dwordx4 v[69:70], v[65:68], off
	global_store_dwordx4 v[69:70], v[1:4], off offset:16
	global_store_dwordx4 v[69:70], v[61:64], off offset:32
	global_store_dwordx4 v[69:70], v[57:60], off offset:48
	global_store_dwordx4 v[69:70], v[53:56], off offset:64
	global_store_dwordx4 v[69:70], v[49:52], off offset:80
	global_store_dwordx4 v[69:70], v[45:48], off offset:96
	global_store_dwordx4 v[69:70], v[41:44], off offset:112
	global_store_dwordx4 v[69:70], v[37:40], off offset:128
	global_store_dwordx4 v[69:70], v[33:36], off offset:144
	global_store_dwordx4 v[69:70], v[29:32], off offset:160
	global_store_dwordx4 v[69:70], v[25:28], off offset:176
	global_store_dwordx4 v[69:70], v[21:24], off offset:192
	global_store_dwordx4 v[69:70], v[17:20], off offset:208
	global_store_dwordx4 v[69:70], v[13:16], off offset:224
	global_store_dwordx4 v[69:70], v[9:12], off offset:240
	s_endpgm
	.section	.rodata,"a",@progbits
	.p2align	6, 0x0
	.amdhsa_kernel _Z6kernelI4downN15benchmark_utils11custom_typeIffEELj256ELj32ELj100EEvPKT0_PS4_
		.amdhsa_group_segment_fixed_size 2048
		.amdhsa_private_segment_fixed_size 0
		.amdhsa_kernarg_size 16
		.amdhsa_user_sgpr_count 6
		.amdhsa_user_sgpr_private_segment_buffer 1
		.amdhsa_user_sgpr_dispatch_ptr 0
		.amdhsa_user_sgpr_queue_ptr 0
		.amdhsa_user_sgpr_kernarg_segment_ptr 1
		.amdhsa_user_sgpr_dispatch_id 0
		.amdhsa_user_sgpr_flat_scratch_init 0
		.amdhsa_user_sgpr_private_segment_size 0
		.amdhsa_uses_dynamic_stack 0
		.amdhsa_system_sgpr_private_segment_wavefront_offset 0
		.amdhsa_system_sgpr_workgroup_id_x 1
		.amdhsa_system_sgpr_workgroup_id_y 0
		.amdhsa_system_sgpr_workgroup_id_z 0
		.amdhsa_system_sgpr_workgroup_info 0
		.amdhsa_system_vgpr_workitem_id 0
		.amdhsa_next_free_vgpr 71
		.amdhsa_next_free_sgpr 7
		.amdhsa_reserve_vcc 1
		.amdhsa_reserve_flat_scratch 0
		.amdhsa_float_round_mode_32 0
		.amdhsa_float_round_mode_16_64 0
		.amdhsa_float_denorm_mode_32 3
		.amdhsa_float_denorm_mode_16_64 3
		.amdhsa_dx10_clamp 1
		.amdhsa_ieee_mode 1
		.amdhsa_fp16_overflow 0
		.amdhsa_exception_fp_ieee_invalid_op 0
		.amdhsa_exception_fp_denorm_src 0
		.amdhsa_exception_fp_ieee_div_zero 0
		.amdhsa_exception_fp_ieee_overflow 0
		.amdhsa_exception_fp_ieee_underflow 0
		.amdhsa_exception_fp_ieee_inexact 0
		.amdhsa_exception_int_div_zero 0
	.end_amdhsa_kernel
	.section	.text._Z6kernelI4downN15benchmark_utils11custom_typeIffEELj256ELj32ELj100EEvPKT0_PS4_,"axG",@progbits,_Z6kernelI4downN15benchmark_utils11custom_typeIffEELj256ELj32ELj100EEvPKT0_PS4_,comdat
.Lfunc_end91:
	.size	_Z6kernelI4downN15benchmark_utils11custom_typeIffEELj256ELj32ELj100EEvPKT0_PS4_, .Lfunc_end91-_Z6kernelI4downN15benchmark_utils11custom_typeIffEELj256ELj32ELj100EEvPKT0_PS4_
                                        ; -- End function
	.set _Z6kernelI4downN15benchmark_utils11custom_typeIffEELj256ELj32ELj100EEvPKT0_PS4_.num_vgpr, 71
	.set _Z6kernelI4downN15benchmark_utils11custom_typeIffEELj256ELj32ELj100EEvPKT0_PS4_.num_agpr, 0
	.set _Z6kernelI4downN15benchmark_utils11custom_typeIffEELj256ELj32ELj100EEvPKT0_PS4_.numbered_sgpr, 7
	.set _Z6kernelI4downN15benchmark_utils11custom_typeIffEELj256ELj32ELj100EEvPKT0_PS4_.num_named_barrier, 0
	.set _Z6kernelI4downN15benchmark_utils11custom_typeIffEELj256ELj32ELj100EEvPKT0_PS4_.private_seg_size, 0
	.set _Z6kernelI4downN15benchmark_utils11custom_typeIffEELj256ELj32ELj100EEvPKT0_PS4_.uses_vcc, 1
	.set _Z6kernelI4downN15benchmark_utils11custom_typeIffEELj256ELj32ELj100EEvPKT0_PS4_.uses_flat_scratch, 0
	.set _Z6kernelI4downN15benchmark_utils11custom_typeIffEELj256ELj32ELj100EEvPKT0_PS4_.has_dyn_sized_stack, 0
	.set _Z6kernelI4downN15benchmark_utils11custom_typeIffEELj256ELj32ELj100EEvPKT0_PS4_.has_recursion, 0
	.set _Z6kernelI4downN15benchmark_utils11custom_typeIffEELj256ELj32ELj100EEvPKT0_PS4_.has_indirect_call, 0
	.section	.AMDGPU.csdata,"",@progbits
; Kernel info:
; codeLenInByte = 728
; TotalNumSgprs: 11
; NumVgprs: 71
; ScratchSize: 0
; MemoryBound: 1
; FloatMode: 240
; IeeeMode: 1
; LDSByteSize: 2048 bytes/workgroup (compile time only)
; SGPRBlocks: 1
; VGPRBlocks: 17
; NumSGPRsForWavesPerEU: 11
; NumVGPRsForWavesPerEU: 71
; Occupancy: 3
; WaveLimiterHint : 0
; COMPUTE_PGM_RSRC2:SCRATCH_EN: 0
; COMPUTE_PGM_RSRC2:USER_SGPR: 6
; COMPUTE_PGM_RSRC2:TRAP_HANDLER: 0
; COMPUTE_PGM_RSRC2:TGID_X_EN: 1
; COMPUTE_PGM_RSRC2:TGID_Y_EN: 0
; COMPUTE_PGM_RSRC2:TGID_Z_EN: 0
; COMPUTE_PGM_RSRC2:TIDIG_COMP_CNT: 0
	.section	.text._Z6kernelI4downN15benchmark_utils11custom_typeIddEELj256ELj1ELj100EEvPKT0_PS4_,"axG",@progbits,_Z6kernelI4downN15benchmark_utils11custom_typeIddEELj256ELj1ELj100EEvPKT0_PS4_,comdat
	.protected	_Z6kernelI4downN15benchmark_utils11custom_typeIddEELj256ELj1ELj100EEvPKT0_PS4_ ; -- Begin function _Z6kernelI4downN15benchmark_utils11custom_typeIddEELj256ELj1ELj100EEvPKT0_PS4_
	.globl	_Z6kernelI4downN15benchmark_utils11custom_typeIddEELj256ELj1ELj100EEvPKT0_PS4_
	.p2align	8
	.type	_Z6kernelI4downN15benchmark_utils11custom_typeIddEELj256ELj1ELj100EEvPKT0_PS4_,@function
_Z6kernelI4downN15benchmark_utils11custom_typeIddEELj256ELj1ELj100EEvPKT0_PS4_: ; @_Z6kernelI4downN15benchmark_utils11custom_typeIddEELj256ELj1ELj100EEvPKT0_PS4_
; %bb.0:
	s_load_dwordx4 s[0:3], s[4:5], 0x0
	v_lshl_or_b32 v1, s6, 8, v0
	v_mov_b32_e32 v2, 0
	v_lshlrev_b64 v[5:6], 4, v[1:2]
	v_lshlrev_b32_e32 v7, 4, v0
	s_waitcnt lgkmcnt(0)
	v_mov_b32_e32 v2, s1
	v_add_co_u32_e32 v1, vcc, s0, v5
	v_addc_co_u32_e32 v2, vcc, v2, v6, vcc
	global_load_dwordx4 v[1:4], v[1:2], off
	s_movk_i32 s0, 0xff
	v_cmp_gt_u32_e32 vcc, s0, v0
	s_movk_i32 s4, 0x64
	s_branch .LBB92_2
.LBB92_1:                               ;   in Loop: Header=BB92_2 Depth=1
	s_or_b64 exec, exec, s[0:1]
	s_add_i32 s4, s4, -1
	s_cmp_lg_u32 s4, 0
	s_waitcnt lgkmcnt(0)
	s_barrier
	s_cbranch_scc0 .LBB92_4
.LBB92_2:                               ; =>This Inner Loop Header: Depth=1
	s_waitcnt vmcnt(0)
	ds_write2_b64 v7, v[1:2], v[3:4] offset1:1
	s_waitcnt lgkmcnt(0)
	s_barrier
	s_and_saveexec_b64 s[0:1], vcc
	s_cbranch_execz .LBB92_1
; %bb.3:                                ;   in Loop: Header=BB92_2 Depth=1
	ds_read2_b64 v[1:4], v7 offset0:2 offset1:3
	s_branch .LBB92_1
.LBB92_4:
	v_mov_b32_e32 v0, s3
	v_add_co_u32_e32 v5, vcc, s2, v5
	v_addc_co_u32_e32 v6, vcc, v0, v6, vcc
	global_store_dwordx4 v[5:6], v[1:4], off
	s_endpgm
	.section	.rodata,"a",@progbits
	.p2align	6, 0x0
	.amdhsa_kernel _Z6kernelI4downN15benchmark_utils11custom_typeIddEELj256ELj1ELj100EEvPKT0_PS4_
		.amdhsa_group_segment_fixed_size 4096
		.amdhsa_private_segment_fixed_size 0
		.amdhsa_kernarg_size 16
		.amdhsa_user_sgpr_count 6
		.amdhsa_user_sgpr_private_segment_buffer 1
		.amdhsa_user_sgpr_dispatch_ptr 0
		.amdhsa_user_sgpr_queue_ptr 0
		.amdhsa_user_sgpr_kernarg_segment_ptr 1
		.amdhsa_user_sgpr_dispatch_id 0
		.amdhsa_user_sgpr_flat_scratch_init 0
		.amdhsa_user_sgpr_private_segment_size 0
		.amdhsa_uses_dynamic_stack 0
		.amdhsa_system_sgpr_private_segment_wavefront_offset 0
		.amdhsa_system_sgpr_workgroup_id_x 1
		.amdhsa_system_sgpr_workgroup_id_y 0
		.amdhsa_system_sgpr_workgroup_id_z 0
		.amdhsa_system_sgpr_workgroup_info 0
		.amdhsa_system_vgpr_workitem_id 0
		.amdhsa_next_free_vgpr 8
		.amdhsa_next_free_sgpr 7
		.amdhsa_reserve_vcc 1
		.amdhsa_reserve_flat_scratch 0
		.amdhsa_float_round_mode_32 0
		.amdhsa_float_round_mode_16_64 0
		.amdhsa_float_denorm_mode_32 3
		.amdhsa_float_denorm_mode_16_64 3
		.amdhsa_dx10_clamp 1
		.amdhsa_ieee_mode 1
		.amdhsa_fp16_overflow 0
		.amdhsa_exception_fp_ieee_invalid_op 0
		.amdhsa_exception_fp_denorm_src 0
		.amdhsa_exception_fp_ieee_div_zero 0
		.amdhsa_exception_fp_ieee_overflow 0
		.amdhsa_exception_fp_ieee_underflow 0
		.amdhsa_exception_fp_ieee_inexact 0
		.amdhsa_exception_int_div_zero 0
	.end_amdhsa_kernel
	.section	.text._Z6kernelI4downN15benchmark_utils11custom_typeIddEELj256ELj1ELj100EEvPKT0_PS4_,"axG",@progbits,_Z6kernelI4downN15benchmark_utils11custom_typeIddEELj256ELj1ELj100EEvPKT0_PS4_,comdat
.Lfunc_end92:
	.size	_Z6kernelI4downN15benchmark_utils11custom_typeIddEELj256ELj1ELj100EEvPKT0_PS4_, .Lfunc_end92-_Z6kernelI4downN15benchmark_utils11custom_typeIddEELj256ELj1ELj100EEvPKT0_PS4_
                                        ; -- End function
	.set _Z6kernelI4downN15benchmark_utils11custom_typeIddEELj256ELj1ELj100EEvPKT0_PS4_.num_vgpr, 8
	.set _Z6kernelI4downN15benchmark_utils11custom_typeIddEELj256ELj1ELj100EEvPKT0_PS4_.num_agpr, 0
	.set _Z6kernelI4downN15benchmark_utils11custom_typeIddEELj256ELj1ELj100EEvPKT0_PS4_.numbered_sgpr, 7
	.set _Z6kernelI4downN15benchmark_utils11custom_typeIddEELj256ELj1ELj100EEvPKT0_PS4_.num_named_barrier, 0
	.set _Z6kernelI4downN15benchmark_utils11custom_typeIddEELj256ELj1ELj100EEvPKT0_PS4_.private_seg_size, 0
	.set _Z6kernelI4downN15benchmark_utils11custom_typeIddEELj256ELj1ELj100EEvPKT0_PS4_.uses_vcc, 1
	.set _Z6kernelI4downN15benchmark_utils11custom_typeIddEELj256ELj1ELj100EEvPKT0_PS4_.uses_flat_scratch, 0
	.set _Z6kernelI4downN15benchmark_utils11custom_typeIddEELj256ELj1ELj100EEvPKT0_PS4_.has_dyn_sized_stack, 0
	.set _Z6kernelI4downN15benchmark_utils11custom_typeIddEELj256ELj1ELj100EEvPKT0_PS4_.has_recursion, 0
	.set _Z6kernelI4downN15benchmark_utils11custom_typeIddEELj256ELj1ELj100EEvPKT0_PS4_.has_indirect_call, 0
	.section	.AMDGPU.csdata,"",@progbits
; Kernel info:
; codeLenInByte = 160
; TotalNumSgprs: 11
; NumVgprs: 8
; ScratchSize: 0
; MemoryBound: 0
; FloatMode: 240
; IeeeMode: 1
; LDSByteSize: 4096 bytes/workgroup (compile time only)
; SGPRBlocks: 1
; VGPRBlocks: 1
; NumSGPRsForWavesPerEU: 11
; NumVGPRsForWavesPerEU: 8
; Occupancy: 10
; WaveLimiterHint : 0
; COMPUTE_PGM_RSRC2:SCRATCH_EN: 0
; COMPUTE_PGM_RSRC2:USER_SGPR: 6
; COMPUTE_PGM_RSRC2:TRAP_HANDLER: 0
; COMPUTE_PGM_RSRC2:TGID_X_EN: 1
; COMPUTE_PGM_RSRC2:TGID_Y_EN: 0
; COMPUTE_PGM_RSRC2:TGID_Z_EN: 0
; COMPUTE_PGM_RSRC2:TIDIG_COMP_CNT: 0
	.section	.text._Z6kernelI4downN15benchmark_utils11custom_typeIddEELj256ELj3ELj100EEvPKT0_PS4_,"axG",@progbits,_Z6kernelI4downN15benchmark_utils11custom_typeIddEELj256ELj3ELj100EEvPKT0_PS4_,comdat
	.protected	_Z6kernelI4downN15benchmark_utils11custom_typeIddEELj256ELj3ELj100EEvPKT0_PS4_ ; -- Begin function _Z6kernelI4downN15benchmark_utils11custom_typeIddEELj256ELj3ELj100EEvPKT0_PS4_
	.globl	_Z6kernelI4downN15benchmark_utils11custom_typeIddEELj256ELj3ELj100EEvPKT0_PS4_
	.p2align	8
	.type	_Z6kernelI4downN15benchmark_utils11custom_typeIddEELj256ELj3ELj100EEvPKT0_PS4_,@function
_Z6kernelI4downN15benchmark_utils11custom_typeIddEELj256ELj3ELj100EEvPKT0_PS4_: ; @_Z6kernelI4downN15benchmark_utils11custom_typeIddEELj256ELj3ELj100EEvPKT0_PS4_
; %bb.0:
	s_load_dwordx4 s[0:3], s[4:5], 0x0
	v_lshl_or_b32 v1, s6, 8, v0
	v_lshl_add_u32 v9, v1, 1, v1
	v_mov_b32_e32 v10, 0
	v_lshlrev_b64 v[13:14], 4, v[9:10]
	s_waitcnt lgkmcnt(0)
	v_mov_b32_e32 v1, s1
	v_add_co_u32_e32 v11, vcc, s0, v13
	v_addc_co_u32_e32 v12, vcc, v1, v14, vcc
	v_add_u32_e32 v1, 1, v9
	v_mov_b32_e32 v2, v10
	v_lshlrev_b64 v[15:16], 4, v[1:2]
	v_mov_b32_e32 v1, s1
	v_add_co_u32_e32 v17, vcc, s0, v15
	v_addc_co_u32_e32 v18, vcc, v1, v16, vcc
	v_add_u32_e32 v9, 2, v9
	global_load_dwordx4 v[5:8], v[11:12], off
	global_load_dwordx4 v[1:4], v[17:18], off
	v_lshlrev_b64 v[17:18], 4, v[9:10]
	v_mov_b32_e32 v10, s1
	v_add_co_u32_e32 v9, vcc, s0, v17
	v_addc_co_u32_e32 v10, vcc, v10, v18, vcc
	global_load_dwordx4 v[9:12], v[9:10], off
	s_movk_i32 s0, 0xff
	v_lshlrev_b32_e32 v21, 4, v0
	v_cmp_gt_u32_e32 vcc, s0, v0
	s_movk_i32 s4, 0x64
	s_branch .LBB93_2
.LBB93_1:                               ;   in Loop: Header=BB93_2 Depth=1
	s_or_b64 exec, exec, s[0:1]
	s_add_i32 s4, s4, -1
	s_cmp_lg_u32 s4, 0
	s_waitcnt lgkmcnt(0)
	s_barrier
	s_cbranch_scc0 .LBB93_4
.LBB93_2:                               ; =>This Inner Loop Header: Depth=1
	s_waitcnt vmcnt(2)
	v_mov_b32_e32 v20, v6
	v_mov_b32_e32 v23, v8
	v_mov_b32_e32 v19, v5
	v_mov_b32_e32 v22, v7
	s_waitcnt vmcnt(1)
	v_mov_b32_e32 v6, v2
	v_mov_b32_e32 v8, v4
	v_mov_b32_e32 v5, v1
	v_mov_b32_e32 v7, v3
	;; [unrolled: 5-line block ×3, first 2 shown]
	ds_write2_b64 v21, v[19:20], v[22:23] offset1:1
	s_waitcnt lgkmcnt(0)
	s_barrier
	s_and_saveexec_b64 s[0:1], vcc
	s_cbranch_execz .LBB93_1
; %bb.3:                                ;   in Loop: Header=BB93_2 Depth=1
	ds_read2_b64 v[9:12], v21 offset0:2 offset1:3
	s_branch .LBB93_1
.LBB93_4:
	v_mov_b32_e32 v0, s3
	v_add_co_u32_e32 v13, vcc, s2, v13
	v_addc_co_u32_e32 v14, vcc, v0, v14, vcc
	global_store_dwordx4 v[13:14], v[5:8], off
	s_nop 0
	v_add_co_u32_e32 v5, vcc, s2, v15
	v_addc_co_u32_e32 v6, vcc, v0, v16, vcc
	global_store_dwordx4 v[5:6], v[1:4], off
	v_add_co_u32_e32 v0, vcc, s2, v17
	v_mov_b32_e32 v1, s3
	v_addc_co_u32_e32 v1, vcc, v1, v18, vcc
	global_store_dwordx4 v[0:1], v[9:12], off
	s_endpgm
	.section	.rodata,"a",@progbits
	.p2align	6, 0x0
	.amdhsa_kernel _Z6kernelI4downN15benchmark_utils11custom_typeIddEELj256ELj3ELj100EEvPKT0_PS4_
		.amdhsa_group_segment_fixed_size 4096
		.amdhsa_private_segment_fixed_size 0
		.amdhsa_kernarg_size 16
		.amdhsa_user_sgpr_count 6
		.amdhsa_user_sgpr_private_segment_buffer 1
		.amdhsa_user_sgpr_dispatch_ptr 0
		.amdhsa_user_sgpr_queue_ptr 0
		.amdhsa_user_sgpr_kernarg_segment_ptr 1
		.amdhsa_user_sgpr_dispatch_id 0
		.amdhsa_user_sgpr_flat_scratch_init 0
		.amdhsa_user_sgpr_private_segment_size 0
		.amdhsa_uses_dynamic_stack 0
		.amdhsa_system_sgpr_private_segment_wavefront_offset 0
		.amdhsa_system_sgpr_workgroup_id_x 1
		.amdhsa_system_sgpr_workgroup_id_y 0
		.amdhsa_system_sgpr_workgroup_id_z 0
		.amdhsa_system_sgpr_workgroup_info 0
		.amdhsa_system_vgpr_workitem_id 0
		.amdhsa_next_free_vgpr 24
		.amdhsa_next_free_sgpr 7
		.amdhsa_reserve_vcc 1
		.amdhsa_reserve_flat_scratch 0
		.amdhsa_float_round_mode_32 0
		.amdhsa_float_round_mode_16_64 0
		.amdhsa_float_denorm_mode_32 3
		.amdhsa_float_denorm_mode_16_64 3
		.amdhsa_dx10_clamp 1
		.amdhsa_ieee_mode 1
		.amdhsa_fp16_overflow 0
		.amdhsa_exception_fp_ieee_invalid_op 0
		.amdhsa_exception_fp_denorm_src 0
		.amdhsa_exception_fp_ieee_div_zero 0
		.amdhsa_exception_fp_ieee_overflow 0
		.amdhsa_exception_fp_ieee_underflow 0
		.amdhsa_exception_fp_ieee_inexact 0
		.amdhsa_exception_int_div_zero 0
	.end_amdhsa_kernel
	.section	.text._Z6kernelI4downN15benchmark_utils11custom_typeIddEELj256ELj3ELj100EEvPKT0_PS4_,"axG",@progbits,_Z6kernelI4downN15benchmark_utils11custom_typeIddEELj256ELj3ELj100EEvPKT0_PS4_,comdat
.Lfunc_end93:
	.size	_Z6kernelI4downN15benchmark_utils11custom_typeIddEELj256ELj3ELj100EEvPKT0_PS4_, .Lfunc_end93-_Z6kernelI4downN15benchmark_utils11custom_typeIddEELj256ELj3ELj100EEvPKT0_PS4_
                                        ; -- End function
	.set _Z6kernelI4downN15benchmark_utils11custom_typeIddEELj256ELj3ELj100EEvPKT0_PS4_.num_vgpr, 24
	.set _Z6kernelI4downN15benchmark_utils11custom_typeIddEELj256ELj3ELj100EEvPKT0_PS4_.num_agpr, 0
	.set _Z6kernelI4downN15benchmark_utils11custom_typeIddEELj256ELj3ELj100EEvPKT0_PS4_.numbered_sgpr, 7
	.set _Z6kernelI4downN15benchmark_utils11custom_typeIddEELj256ELj3ELj100EEvPKT0_PS4_.num_named_barrier, 0
	.set _Z6kernelI4downN15benchmark_utils11custom_typeIddEELj256ELj3ELj100EEvPKT0_PS4_.private_seg_size, 0
	.set _Z6kernelI4downN15benchmark_utils11custom_typeIddEELj256ELj3ELj100EEvPKT0_PS4_.uses_vcc, 1
	.set _Z6kernelI4downN15benchmark_utils11custom_typeIddEELj256ELj3ELj100EEvPKT0_PS4_.uses_flat_scratch, 0
	.set _Z6kernelI4downN15benchmark_utils11custom_typeIddEELj256ELj3ELj100EEvPKT0_PS4_.has_dyn_sized_stack, 0
	.set _Z6kernelI4downN15benchmark_utils11custom_typeIddEELj256ELj3ELj100EEvPKT0_PS4_.has_recursion, 0
	.set _Z6kernelI4downN15benchmark_utils11custom_typeIddEELj256ELj3ELj100EEvPKT0_PS4_.has_indirect_call, 0
	.section	.AMDGPU.csdata,"",@progbits
; Kernel info:
; codeLenInByte = 332
; TotalNumSgprs: 11
; NumVgprs: 24
; ScratchSize: 0
; MemoryBound: 0
; FloatMode: 240
; IeeeMode: 1
; LDSByteSize: 4096 bytes/workgroup (compile time only)
; SGPRBlocks: 1
; VGPRBlocks: 5
; NumSGPRsForWavesPerEU: 11
; NumVGPRsForWavesPerEU: 24
; Occupancy: 10
; WaveLimiterHint : 0
; COMPUTE_PGM_RSRC2:SCRATCH_EN: 0
; COMPUTE_PGM_RSRC2:USER_SGPR: 6
; COMPUTE_PGM_RSRC2:TRAP_HANDLER: 0
; COMPUTE_PGM_RSRC2:TGID_X_EN: 1
; COMPUTE_PGM_RSRC2:TGID_Y_EN: 0
; COMPUTE_PGM_RSRC2:TGID_Z_EN: 0
; COMPUTE_PGM_RSRC2:TIDIG_COMP_CNT: 0
	.section	.text._Z6kernelI4downN15benchmark_utils11custom_typeIddEELj256ELj4ELj100EEvPKT0_PS4_,"axG",@progbits,_Z6kernelI4downN15benchmark_utils11custom_typeIddEELj256ELj4ELj100EEvPKT0_PS4_,comdat
	.protected	_Z6kernelI4downN15benchmark_utils11custom_typeIddEELj256ELj4ELj100EEvPKT0_PS4_ ; -- Begin function _Z6kernelI4downN15benchmark_utils11custom_typeIddEELj256ELj4ELj100EEvPKT0_PS4_
	.globl	_Z6kernelI4downN15benchmark_utils11custom_typeIddEELj256ELj4ELj100EEvPKT0_PS4_
	.p2align	8
	.type	_Z6kernelI4downN15benchmark_utils11custom_typeIddEELj256ELj4ELj100EEvPKT0_PS4_,@function
_Z6kernelI4downN15benchmark_utils11custom_typeIddEELj256ELj4ELj100EEvPKT0_PS4_: ; @_Z6kernelI4downN15benchmark_utils11custom_typeIddEELj256ELj4ELj100EEvPKT0_PS4_
; %bb.0:
	s_load_dwordx4 s[0:3], s[4:5], 0x0
	v_lshlrev_b32_e32 v1, 2, v0
	v_lshl_or_b32 v1, s6, 10, v1
	v_mov_b32_e32 v2, 0
	v_lshlrev_b64 v[17:18], 4, v[1:2]
	s_waitcnt lgkmcnt(0)
	v_mov_b32_e32 v1, s1
	v_add_co_u32_e32 v19, vcc, s0, v17
	v_addc_co_u32_e32 v20, vcc, v1, v18, vcc
	global_load_dwordx4 v[5:8], v[19:20], off offset:16
	global_load_dwordx4 v[13:16], v[19:20], off
	global_load_dwordx4 v[9:12], v[19:20], off offset:48
	global_load_dwordx4 v[1:4], v[19:20], off offset:32
	s_movk_i32 s0, 0xff
	v_lshlrev_b32_e32 v21, 4, v0
	v_cmp_gt_u32_e32 vcc, s0, v0
	s_movk_i32 s4, 0x64
	s_branch .LBB94_2
.LBB94_1:                               ;   in Loop: Header=BB94_2 Depth=1
	s_or_b64 exec, exec, s[0:1]
	s_add_i32 s4, s4, -1
	s_cmp_lg_u32 s4, 0
	s_waitcnt lgkmcnt(0)
	s_barrier
	s_cbranch_scc0 .LBB94_4
.LBB94_2:                               ; =>This Inner Loop Header: Depth=1
	s_waitcnt vmcnt(2)
	v_mov_b32_e32 v20, v14
	v_mov_b32_e32 v23, v16
	;; [unrolled: 1-line block ×8, first 2 shown]
	s_waitcnt vmcnt(0)
	v_mov_b32_e32 v6, v2
	v_mov_b32_e32 v8, v4
	;; [unrolled: 1-line block ×8, first 2 shown]
	ds_write2_b64 v21, v[19:20], v[22:23] offset1:1
	s_waitcnt lgkmcnt(0)
	s_barrier
	s_and_saveexec_b64 s[0:1], vcc
	s_cbranch_execz .LBB94_1
; %bb.3:                                ;   in Loop: Header=BB94_2 Depth=1
	ds_read2_b64 v[9:12], v21 offset0:2 offset1:3
	s_branch .LBB94_1
.LBB94_4:
	v_mov_b32_e32 v0, s3
	v_add_co_u32_e32 v17, vcc, s2, v17
	v_addc_co_u32_e32 v18, vcc, v0, v18, vcc
	global_store_dwordx4 v[17:18], v[13:16], off
	global_store_dwordx4 v[17:18], v[5:8], off offset:16
	global_store_dwordx4 v[17:18], v[1:4], off offset:32
	;; [unrolled: 1-line block ×3, first 2 shown]
	s_endpgm
	.section	.rodata,"a",@progbits
	.p2align	6, 0x0
	.amdhsa_kernel _Z6kernelI4downN15benchmark_utils11custom_typeIddEELj256ELj4ELj100EEvPKT0_PS4_
		.amdhsa_group_segment_fixed_size 4096
		.amdhsa_private_segment_fixed_size 0
		.amdhsa_kernarg_size 16
		.amdhsa_user_sgpr_count 6
		.amdhsa_user_sgpr_private_segment_buffer 1
		.amdhsa_user_sgpr_dispatch_ptr 0
		.amdhsa_user_sgpr_queue_ptr 0
		.amdhsa_user_sgpr_kernarg_segment_ptr 1
		.amdhsa_user_sgpr_dispatch_id 0
		.amdhsa_user_sgpr_flat_scratch_init 0
		.amdhsa_user_sgpr_private_segment_size 0
		.amdhsa_uses_dynamic_stack 0
		.amdhsa_system_sgpr_private_segment_wavefront_offset 0
		.amdhsa_system_sgpr_workgroup_id_x 1
		.amdhsa_system_sgpr_workgroup_id_y 0
		.amdhsa_system_sgpr_workgroup_id_z 0
		.amdhsa_system_sgpr_workgroup_info 0
		.amdhsa_system_vgpr_workitem_id 0
		.amdhsa_next_free_vgpr 24
		.amdhsa_next_free_sgpr 7
		.amdhsa_reserve_vcc 1
		.amdhsa_reserve_flat_scratch 0
		.amdhsa_float_round_mode_32 0
		.amdhsa_float_round_mode_16_64 0
		.amdhsa_float_denorm_mode_32 3
		.amdhsa_float_denorm_mode_16_64 3
		.amdhsa_dx10_clamp 1
		.amdhsa_ieee_mode 1
		.amdhsa_fp16_overflow 0
		.amdhsa_exception_fp_ieee_invalid_op 0
		.amdhsa_exception_fp_denorm_src 0
		.amdhsa_exception_fp_ieee_div_zero 0
		.amdhsa_exception_fp_ieee_overflow 0
		.amdhsa_exception_fp_ieee_underflow 0
		.amdhsa_exception_fp_ieee_inexact 0
		.amdhsa_exception_int_div_zero 0
	.end_amdhsa_kernel
	.section	.text._Z6kernelI4downN15benchmark_utils11custom_typeIddEELj256ELj4ELj100EEvPKT0_PS4_,"axG",@progbits,_Z6kernelI4downN15benchmark_utils11custom_typeIddEELj256ELj4ELj100EEvPKT0_PS4_,comdat
.Lfunc_end94:
	.size	_Z6kernelI4downN15benchmark_utils11custom_typeIddEELj256ELj4ELj100EEvPKT0_PS4_, .Lfunc_end94-_Z6kernelI4downN15benchmark_utils11custom_typeIddEELj256ELj4ELj100EEvPKT0_PS4_
                                        ; -- End function
	.set _Z6kernelI4downN15benchmark_utils11custom_typeIddEELj256ELj4ELj100EEvPKT0_PS4_.num_vgpr, 24
	.set _Z6kernelI4downN15benchmark_utils11custom_typeIddEELj256ELj4ELj100EEvPKT0_PS4_.num_agpr, 0
	.set _Z6kernelI4downN15benchmark_utils11custom_typeIddEELj256ELj4ELj100EEvPKT0_PS4_.numbered_sgpr, 7
	.set _Z6kernelI4downN15benchmark_utils11custom_typeIddEELj256ELj4ELj100EEvPKT0_PS4_.num_named_barrier, 0
	.set _Z6kernelI4downN15benchmark_utils11custom_typeIddEELj256ELj4ELj100EEvPKT0_PS4_.private_seg_size, 0
	.set _Z6kernelI4downN15benchmark_utils11custom_typeIddEELj256ELj4ELj100EEvPKT0_PS4_.uses_vcc, 1
	.set _Z6kernelI4downN15benchmark_utils11custom_typeIddEELj256ELj4ELj100EEvPKT0_PS4_.uses_flat_scratch, 0
	.set _Z6kernelI4downN15benchmark_utils11custom_typeIddEELj256ELj4ELj100EEvPKT0_PS4_.has_dyn_sized_stack, 0
	.set _Z6kernelI4downN15benchmark_utils11custom_typeIddEELj256ELj4ELj100EEvPKT0_PS4_.has_recursion, 0
	.set _Z6kernelI4downN15benchmark_utils11custom_typeIddEELj256ELj4ELj100EEvPKT0_PS4_.has_indirect_call, 0
	.section	.AMDGPU.csdata,"",@progbits
; Kernel info:
; codeLenInByte = 280
; TotalNumSgprs: 11
; NumVgprs: 24
; ScratchSize: 0
; MemoryBound: 1
; FloatMode: 240
; IeeeMode: 1
; LDSByteSize: 4096 bytes/workgroup (compile time only)
; SGPRBlocks: 1
; VGPRBlocks: 5
; NumSGPRsForWavesPerEU: 11
; NumVGPRsForWavesPerEU: 24
; Occupancy: 10
; WaveLimiterHint : 0
; COMPUTE_PGM_RSRC2:SCRATCH_EN: 0
; COMPUTE_PGM_RSRC2:USER_SGPR: 6
; COMPUTE_PGM_RSRC2:TRAP_HANDLER: 0
; COMPUTE_PGM_RSRC2:TGID_X_EN: 1
; COMPUTE_PGM_RSRC2:TGID_Y_EN: 0
; COMPUTE_PGM_RSRC2:TGID_Z_EN: 0
; COMPUTE_PGM_RSRC2:TIDIG_COMP_CNT: 0
	.section	.text._Z6kernelI4downN15benchmark_utils11custom_typeIddEELj256ELj8ELj100EEvPKT0_PS4_,"axG",@progbits,_Z6kernelI4downN15benchmark_utils11custom_typeIddEELj256ELj8ELj100EEvPKT0_PS4_,comdat
	.protected	_Z6kernelI4downN15benchmark_utils11custom_typeIddEELj256ELj8ELj100EEvPKT0_PS4_ ; -- Begin function _Z6kernelI4downN15benchmark_utils11custom_typeIddEELj256ELj8ELj100EEvPKT0_PS4_
	.globl	_Z6kernelI4downN15benchmark_utils11custom_typeIddEELj256ELj8ELj100EEvPKT0_PS4_
	.p2align	8
	.type	_Z6kernelI4downN15benchmark_utils11custom_typeIddEELj256ELj8ELj100EEvPKT0_PS4_,@function
_Z6kernelI4downN15benchmark_utils11custom_typeIddEELj256ELj8ELj100EEvPKT0_PS4_: ; @_Z6kernelI4downN15benchmark_utils11custom_typeIddEELj256ELj8ELj100EEvPKT0_PS4_
; %bb.0:
	s_load_dwordx4 s[0:3], s[4:5], 0x0
	v_lshlrev_b32_e32 v1, 3, v0
	v_lshl_or_b32 v1, s6, 11, v1
	v_mov_b32_e32 v2, 0
	v_lshlrev_b64 v[33:34], 4, v[1:2]
	s_waitcnt lgkmcnt(0)
	v_mov_b32_e32 v1, s1
	v_add_co_u32_e32 v35, vcc, s0, v33
	v_addc_co_u32_e32 v36, vcc, v1, v34, vcc
	global_load_dwordx4 v[1:4], v[35:36], off offset:48
	global_load_dwordx4 v[5:8], v[35:36], off offset:32
	;; [unrolled: 1-line block ×3, first 2 shown]
	global_load_dwordx4 v[29:32], v[35:36], off
	global_load_dwordx4 v[13:16], v[35:36], off offset:112
	global_load_dwordx4 v[9:12], v[35:36], off offset:96
	global_load_dwordx4 v[17:20], v[35:36], off offset:80
	global_load_dwordx4 v[21:24], v[35:36], off offset:64
	s_movk_i32 s0, 0xff
	v_lshlrev_b32_e32 v37, 4, v0
	v_cmp_gt_u32_e32 vcc, s0, v0
	s_movk_i32 s4, 0x64
	s_branch .LBB95_2
.LBB95_1:                               ;   in Loop: Header=BB95_2 Depth=1
	s_or_b64 exec, exec, s[0:1]
	s_add_i32 s4, s4, -1
	s_cmp_lg_u32 s4, 0
	s_waitcnt lgkmcnt(0)
	s_barrier
	s_cbranch_scc0 .LBB95_4
.LBB95_2:                               ; =>This Inner Loop Header: Depth=1
	s_waitcnt vmcnt(4)
	v_mov_b32_e32 v36, v30
	v_mov_b32_e32 v39, v32
	;; [unrolled: 1-line block ×16, first 2 shown]
	s_waitcnt vmcnt(0)
	v_mov_b32_e32 v1, v21
	v_mov_b32_e32 v3, v23
	;; [unrolled: 1-line block ×16, first 2 shown]
	ds_write2_b64 v37, v[35:36], v[38:39] offset1:1
	s_waitcnt lgkmcnt(0)
	s_barrier
	s_and_saveexec_b64 s[0:1], vcc
	s_cbranch_execz .LBB95_1
; %bb.3:                                ;   in Loop: Header=BB95_2 Depth=1
	ds_read2_b64 v[13:16], v37 offset0:2 offset1:3
	s_branch .LBB95_1
.LBB95_4:
	v_mov_b32_e32 v0, s3
	v_add_co_u32_e32 v33, vcc, s2, v33
	v_addc_co_u32_e32 v34, vcc, v0, v34, vcc
	global_store_dwordx4 v[33:34], v[29:32], off
	global_store_dwordx4 v[33:34], v[25:28], off offset:16
	global_store_dwordx4 v[33:34], v[5:8], off offset:32
	;; [unrolled: 1-line block ×7, first 2 shown]
	s_endpgm
	.section	.rodata,"a",@progbits
	.p2align	6, 0x0
	.amdhsa_kernel _Z6kernelI4downN15benchmark_utils11custom_typeIddEELj256ELj8ELj100EEvPKT0_PS4_
		.amdhsa_group_segment_fixed_size 4096
		.amdhsa_private_segment_fixed_size 0
		.amdhsa_kernarg_size 16
		.amdhsa_user_sgpr_count 6
		.amdhsa_user_sgpr_private_segment_buffer 1
		.amdhsa_user_sgpr_dispatch_ptr 0
		.amdhsa_user_sgpr_queue_ptr 0
		.amdhsa_user_sgpr_kernarg_segment_ptr 1
		.amdhsa_user_sgpr_dispatch_id 0
		.amdhsa_user_sgpr_flat_scratch_init 0
		.amdhsa_user_sgpr_private_segment_size 0
		.amdhsa_uses_dynamic_stack 0
		.amdhsa_system_sgpr_private_segment_wavefront_offset 0
		.amdhsa_system_sgpr_workgroup_id_x 1
		.amdhsa_system_sgpr_workgroup_id_y 0
		.amdhsa_system_sgpr_workgroup_id_z 0
		.amdhsa_system_sgpr_workgroup_info 0
		.amdhsa_system_vgpr_workitem_id 0
		.amdhsa_next_free_vgpr 40
		.amdhsa_next_free_sgpr 7
		.amdhsa_reserve_vcc 1
		.amdhsa_reserve_flat_scratch 0
		.amdhsa_float_round_mode_32 0
		.amdhsa_float_round_mode_16_64 0
		.amdhsa_float_denorm_mode_32 3
		.amdhsa_float_denorm_mode_16_64 3
		.amdhsa_dx10_clamp 1
		.amdhsa_ieee_mode 1
		.amdhsa_fp16_overflow 0
		.amdhsa_exception_fp_ieee_invalid_op 0
		.amdhsa_exception_fp_denorm_src 0
		.amdhsa_exception_fp_ieee_div_zero 0
		.amdhsa_exception_fp_ieee_overflow 0
		.amdhsa_exception_fp_ieee_underflow 0
		.amdhsa_exception_fp_ieee_inexact 0
		.amdhsa_exception_int_div_zero 0
	.end_amdhsa_kernel
	.section	.text._Z6kernelI4downN15benchmark_utils11custom_typeIddEELj256ELj8ELj100EEvPKT0_PS4_,"axG",@progbits,_Z6kernelI4downN15benchmark_utils11custom_typeIddEELj256ELj8ELj100EEvPKT0_PS4_,comdat
.Lfunc_end95:
	.size	_Z6kernelI4downN15benchmark_utils11custom_typeIddEELj256ELj8ELj100EEvPKT0_PS4_, .Lfunc_end95-_Z6kernelI4downN15benchmark_utils11custom_typeIddEELj256ELj8ELj100EEvPKT0_PS4_
                                        ; -- End function
	.set _Z6kernelI4downN15benchmark_utils11custom_typeIddEELj256ELj8ELj100EEvPKT0_PS4_.num_vgpr, 40
	.set _Z6kernelI4downN15benchmark_utils11custom_typeIddEELj256ELj8ELj100EEvPKT0_PS4_.num_agpr, 0
	.set _Z6kernelI4downN15benchmark_utils11custom_typeIddEELj256ELj8ELj100EEvPKT0_PS4_.numbered_sgpr, 7
	.set _Z6kernelI4downN15benchmark_utils11custom_typeIddEELj256ELj8ELj100EEvPKT0_PS4_.num_named_barrier, 0
	.set _Z6kernelI4downN15benchmark_utils11custom_typeIddEELj256ELj8ELj100EEvPKT0_PS4_.private_seg_size, 0
	.set _Z6kernelI4downN15benchmark_utils11custom_typeIddEELj256ELj8ELj100EEvPKT0_PS4_.uses_vcc, 1
	.set _Z6kernelI4downN15benchmark_utils11custom_typeIddEELj256ELj8ELj100EEvPKT0_PS4_.uses_flat_scratch, 0
	.set _Z6kernelI4downN15benchmark_utils11custom_typeIddEELj256ELj8ELj100EEvPKT0_PS4_.has_dyn_sized_stack, 0
	.set _Z6kernelI4downN15benchmark_utils11custom_typeIddEELj256ELj8ELj100EEvPKT0_PS4_.has_recursion, 0
	.set _Z6kernelI4downN15benchmark_utils11custom_typeIddEELj256ELj8ELj100EEvPKT0_PS4_.has_indirect_call, 0
	.section	.AMDGPU.csdata,"",@progbits
; Kernel info:
; codeLenInByte = 408
; TotalNumSgprs: 11
; NumVgprs: 40
; ScratchSize: 0
; MemoryBound: 1
; FloatMode: 240
; IeeeMode: 1
; LDSByteSize: 4096 bytes/workgroup (compile time only)
; SGPRBlocks: 1
; VGPRBlocks: 9
; NumSGPRsForWavesPerEU: 11
; NumVGPRsForWavesPerEU: 40
; Occupancy: 6
; WaveLimiterHint : 0
; COMPUTE_PGM_RSRC2:SCRATCH_EN: 0
; COMPUTE_PGM_RSRC2:USER_SGPR: 6
; COMPUTE_PGM_RSRC2:TRAP_HANDLER: 0
; COMPUTE_PGM_RSRC2:TGID_X_EN: 1
; COMPUTE_PGM_RSRC2:TGID_Y_EN: 0
; COMPUTE_PGM_RSRC2:TGID_Z_EN: 0
; COMPUTE_PGM_RSRC2:TIDIG_COMP_CNT: 0
	.section	.text._Z6kernelI4downN15benchmark_utils11custom_typeIddEELj256ELj16ELj100EEvPKT0_PS4_,"axG",@progbits,_Z6kernelI4downN15benchmark_utils11custom_typeIddEELj256ELj16ELj100EEvPKT0_PS4_,comdat
	.protected	_Z6kernelI4downN15benchmark_utils11custom_typeIddEELj256ELj16ELj100EEvPKT0_PS4_ ; -- Begin function _Z6kernelI4downN15benchmark_utils11custom_typeIddEELj256ELj16ELj100EEvPKT0_PS4_
	.globl	_Z6kernelI4downN15benchmark_utils11custom_typeIddEELj256ELj16ELj100EEvPKT0_PS4_
	.p2align	8
	.type	_Z6kernelI4downN15benchmark_utils11custom_typeIddEELj256ELj16ELj100EEvPKT0_PS4_,@function
_Z6kernelI4downN15benchmark_utils11custom_typeIddEELj256ELj16ELj100EEvPKT0_PS4_: ; @_Z6kernelI4downN15benchmark_utils11custom_typeIddEELj256ELj16ELj100EEvPKT0_PS4_
; %bb.0:
	s_load_dwordx4 s[0:3], s[4:5], 0x0
	v_lshlrev_b32_e32 v69, 4, v0
	v_lshl_or_b32 v1, s6, 12, v69
	v_mov_b32_e32 v2, 0
	v_lshlrev_b64 v[65:66], 4, v[1:2]
	s_waitcnt lgkmcnt(0)
	v_mov_b32_e32 v1, s1
	v_add_co_u32_e32 v25, vcc, s0, v65
	v_addc_co_u32_e32 v26, vcc, v1, v66, vcc
	global_load_dwordx4 v[1:4], v[25:26], off offset:48
	global_load_dwordx4 v[5:8], v[25:26], off offset:32
	;; [unrolled: 1-line block ×3, first 2 shown]
	global_load_dwordx4 v[61:64], v[25:26], off
	global_load_dwordx4 v[37:40], v[25:26], off offset:112
	global_load_dwordx4 v[45:48], v[25:26], off offset:96
	;; [unrolled: 1-line block ×11, first 2 shown]
	s_nop 0
	global_load_dwordx4 v[25:28], v[25:26], off offset:192
	s_movk_i32 s0, 0xff
	v_cmp_gt_u32_e32 vcc, s0, v0
	s_movk_i32 s4, 0x64
	s_branch .LBB96_2
.LBB96_1:                               ;   in Loop: Header=BB96_2 Depth=1
	s_or_b64 exec, exec, s[0:1]
	s_add_i32 s4, s4, -1
	s_cmp_lg_u32 s4, 0
	s_waitcnt lgkmcnt(0)
	s_barrier
	s_cbranch_scc0 .LBB96_4
.LBB96_2:                               ; =>This Inner Loop Header: Depth=1
	s_waitcnt vmcnt(12)
	v_mov_b32_e32 v68, v62
	v_mov_b32_e32 v71, v64
	v_mov_b32_e32 v67, v61
	v_mov_b32_e32 v70, v63
	v_mov_b32_e32 v62, v58
	v_mov_b32_e32 v64, v60
	v_mov_b32_e32 v61, v57
	v_mov_b32_e32 v63, v59
	v_mov_b32_e32 v58, v6
	v_mov_b32_e32 v60, v8
	v_mov_b32_e32 v57, v5
	v_mov_b32_e32 v59, v7
	v_mov_b32_e32 v6, v2
	v_mov_b32_e32 v8, v4
	v_mov_b32_e32 v5, v1
	v_mov_b32_e32 v7, v3
	s_waitcnt vmcnt(8)
	v_mov_b32_e32 v1, v53
	v_mov_b32_e32 v3, v55
	v_mov_b32_e32 v2, v54
	v_mov_b32_e32 v4, v56
	v_mov_b32_e32 v54, v50
	v_mov_b32_e32 v56, v52
	v_mov_b32_e32 v53, v49
	v_mov_b32_e32 v55, v51
	v_mov_b32_e32 v50, v46
	v_mov_b32_e32 v52, v48
	v_mov_b32_e32 v49, v45
	v_mov_b32_e32 v51, v47
	v_mov_b32_e32 v46, v38
	v_mov_b32_e32 v48, v40
	v_mov_b32_e32 v45, v37
	v_mov_b32_e32 v47, v39
	s_waitcnt vmcnt(4)
	v_mov_b32_e32 v37, v41
	v_mov_b32_e32 v39, v43
	v_mov_b32_e32 v38, v42
	v_mov_b32_e32 v40, v44
	v_mov_b32_e32 v42, v34
	v_mov_b32_e32 v44, v36
	v_mov_b32_e32 v41, v33
	v_mov_b32_e32 v43, v35
	v_mov_b32_e32 v34, v30
	v_mov_b32_e32 v36, v32
	v_mov_b32_e32 v33, v29
	v_mov_b32_e32 v35, v31
	v_mov_b32_e32 v30, v22
	v_mov_b32_e32 v32, v24
	v_mov_b32_e32 v29, v21
	v_mov_b32_e32 v31, v23
	s_waitcnt vmcnt(0)
	v_mov_b32_e32 v21, v25
	v_mov_b32_e32 v23, v27
	v_mov_b32_e32 v22, v26
	v_mov_b32_e32 v24, v28
	v_mov_b32_e32 v26, v18
	v_mov_b32_e32 v28, v20
	v_mov_b32_e32 v25, v17
	v_mov_b32_e32 v27, v19
	v_mov_b32_e32 v18, v10
	v_mov_b32_e32 v20, v12
	v_mov_b32_e32 v17, v9
	v_mov_b32_e32 v19, v11
	v_mov_b32_e32 v9, v13
	v_mov_b32_e32 v11, v15
	v_mov_b32_e32 v10, v14
	v_mov_b32_e32 v12, v16
	ds_write2_b64 v69, v[67:68], v[70:71] offset1:1
	s_waitcnt lgkmcnt(0)
	s_barrier
	s_and_saveexec_b64 s[0:1], vcc
	s_cbranch_execz .LBB96_1
; %bb.3:                                ;   in Loop: Header=BB96_2 Depth=1
	ds_read2_b64 v[13:16], v69 offset0:2 offset1:3
	s_branch .LBB96_1
.LBB96_4:
	v_mov_b32_e32 v0, s3
	v_add_co_u32_e32 v65, vcc, s2, v65
	v_addc_co_u32_e32 v66, vcc, v0, v66, vcc
	global_store_dwordx4 v[65:66], v[61:64], off
	global_store_dwordx4 v[65:66], v[57:60], off offset:16
	global_store_dwordx4 v[65:66], v[5:8], off offset:32
	;; [unrolled: 1-line block ×15, first 2 shown]
	s_endpgm
	.section	.rodata,"a",@progbits
	.p2align	6, 0x0
	.amdhsa_kernel _Z6kernelI4downN15benchmark_utils11custom_typeIddEELj256ELj16ELj100EEvPKT0_PS4_
		.amdhsa_group_segment_fixed_size 4096
		.amdhsa_private_segment_fixed_size 0
		.amdhsa_kernarg_size 16
		.amdhsa_user_sgpr_count 6
		.amdhsa_user_sgpr_private_segment_buffer 1
		.amdhsa_user_sgpr_dispatch_ptr 0
		.amdhsa_user_sgpr_queue_ptr 0
		.amdhsa_user_sgpr_kernarg_segment_ptr 1
		.amdhsa_user_sgpr_dispatch_id 0
		.amdhsa_user_sgpr_flat_scratch_init 0
		.amdhsa_user_sgpr_private_segment_size 0
		.amdhsa_uses_dynamic_stack 0
		.amdhsa_system_sgpr_private_segment_wavefront_offset 0
		.amdhsa_system_sgpr_workgroup_id_x 1
		.amdhsa_system_sgpr_workgroup_id_y 0
		.amdhsa_system_sgpr_workgroup_id_z 0
		.amdhsa_system_sgpr_workgroup_info 0
		.amdhsa_system_vgpr_workitem_id 0
		.amdhsa_next_free_vgpr 72
		.amdhsa_next_free_sgpr 7
		.amdhsa_reserve_vcc 1
		.amdhsa_reserve_flat_scratch 0
		.amdhsa_float_round_mode_32 0
		.amdhsa_float_round_mode_16_64 0
		.amdhsa_float_denorm_mode_32 3
		.amdhsa_float_denorm_mode_16_64 3
		.amdhsa_dx10_clamp 1
		.amdhsa_ieee_mode 1
		.amdhsa_fp16_overflow 0
		.amdhsa_exception_fp_ieee_invalid_op 0
		.amdhsa_exception_fp_denorm_src 0
		.amdhsa_exception_fp_ieee_div_zero 0
		.amdhsa_exception_fp_ieee_overflow 0
		.amdhsa_exception_fp_ieee_underflow 0
		.amdhsa_exception_fp_ieee_inexact 0
		.amdhsa_exception_int_div_zero 0
	.end_amdhsa_kernel
	.section	.text._Z6kernelI4downN15benchmark_utils11custom_typeIddEELj256ELj16ELj100EEvPKT0_PS4_,"axG",@progbits,_Z6kernelI4downN15benchmark_utils11custom_typeIddEELj256ELj16ELj100EEvPKT0_PS4_,comdat
.Lfunc_end96:
	.size	_Z6kernelI4downN15benchmark_utils11custom_typeIddEELj256ELj16ELj100EEvPKT0_PS4_, .Lfunc_end96-_Z6kernelI4downN15benchmark_utils11custom_typeIddEELj256ELj16ELj100EEvPKT0_PS4_
                                        ; -- End function
	.set _Z6kernelI4downN15benchmark_utils11custom_typeIddEELj256ELj16ELj100EEvPKT0_PS4_.num_vgpr, 72
	.set _Z6kernelI4downN15benchmark_utils11custom_typeIddEELj256ELj16ELj100EEvPKT0_PS4_.num_agpr, 0
	.set _Z6kernelI4downN15benchmark_utils11custom_typeIddEELj256ELj16ELj100EEvPKT0_PS4_.numbered_sgpr, 7
	.set _Z6kernelI4downN15benchmark_utils11custom_typeIddEELj256ELj16ELj100EEvPKT0_PS4_.num_named_barrier, 0
	.set _Z6kernelI4downN15benchmark_utils11custom_typeIddEELj256ELj16ELj100EEvPKT0_PS4_.private_seg_size, 0
	.set _Z6kernelI4downN15benchmark_utils11custom_typeIddEELj256ELj16ELj100EEvPKT0_PS4_.uses_vcc, 1
	.set _Z6kernelI4downN15benchmark_utils11custom_typeIddEELj256ELj16ELj100EEvPKT0_PS4_.uses_flat_scratch, 0
	.set _Z6kernelI4downN15benchmark_utils11custom_typeIddEELj256ELj16ELj100EEvPKT0_PS4_.has_dyn_sized_stack, 0
	.set _Z6kernelI4downN15benchmark_utils11custom_typeIddEELj256ELj16ELj100EEvPKT0_PS4_.has_recursion, 0
	.set _Z6kernelI4downN15benchmark_utils11custom_typeIddEELj256ELj16ELj100EEvPKT0_PS4_.has_indirect_call, 0
	.section	.AMDGPU.csdata,"",@progbits
; Kernel info:
; codeLenInByte = 672
; TotalNumSgprs: 11
; NumVgprs: 72
; ScratchSize: 0
; MemoryBound: 1
; FloatMode: 240
; IeeeMode: 1
; LDSByteSize: 4096 bytes/workgroup (compile time only)
; SGPRBlocks: 1
; VGPRBlocks: 17
; NumSGPRsForWavesPerEU: 11
; NumVGPRsForWavesPerEU: 72
; Occupancy: 3
; WaveLimiterHint : 0
; COMPUTE_PGM_RSRC2:SCRATCH_EN: 0
; COMPUTE_PGM_RSRC2:USER_SGPR: 6
; COMPUTE_PGM_RSRC2:TRAP_HANDLER: 0
; COMPUTE_PGM_RSRC2:TGID_X_EN: 1
; COMPUTE_PGM_RSRC2:TGID_Y_EN: 0
; COMPUTE_PGM_RSRC2:TGID_Z_EN: 0
; COMPUTE_PGM_RSRC2:TIDIG_COMP_CNT: 0
	.section	.text._Z6kernelI4downN15benchmark_utils11custom_typeIddEELj256ELj32ELj100EEvPKT0_PS4_,"axG",@progbits,_Z6kernelI4downN15benchmark_utils11custom_typeIddEELj256ELj32ELj100EEvPKT0_PS4_,comdat
	.protected	_Z6kernelI4downN15benchmark_utils11custom_typeIddEELj256ELj32ELj100EEvPKT0_PS4_ ; -- Begin function _Z6kernelI4downN15benchmark_utils11custom_typeIddEELj256ELj32ELj100EEvPKT0_PS4_
	.globl	_Z6kernelI4downN15benchmark_utils11custom_typeIddEELj256ELj32ELj100EEvPKT0_PS4_
	.p2align	8
	.type	_Z6kernelI4downN15benchmark_utils11custom_typeIddEELj256ELj32ELj100EEvPKT0_PS4_,@function
_Z6kernelI4downN15benchmark_utils11custom_typeIddEELj256ELj32ELj100EEvPKT0_PS4_: ; @_Z6kernelI4downN15benchmark_utils11custom_typeIddEELj256ELj32ELj100EEvPKT0_PS4_
; %bb.0:
	s_load_dwordx4 s[0:3], s[4:5], 0x0
	v_lshlrev_b32_e32 v1, 5, v0
	v_lshl_or_b32 v1, s6, 13, v1
	v_mov_b32_e32 v2, 0
	v_lshlrev_b64 v[129:130], 4, v[1:2]
	s_waitcnt lgkmcnt(0)
	v_mov_b32_e32 v1, s1
	v_add_co_u32_e32 v25, vcc, s0, v129
	v_addc_co_u32_e32 v26, vcc, v1, v130, vcc
	global_load_dwordx4 v[1:4], v[25:26], off offset:48
	global_load_dwordx4 v[5:8], v[25:26], off offset:32
	;; [unrolled: 1-line block ×3, first 2 shown]
	global_load_dwordx4 v[125:128], v[25:26], off
	global_load_dwordx4 v[101:104], v[25:26], off offset:112
	global_load_dwordx4 v[109:112], v[25:26], off offset:96
	;; [unrolled: 1-line block ×27, first 2 shown]
	s_nop 0
	global_load_dwordx4 v[25:28], v[25:26], off offset:448
	s_movk_i32 s0, 0xff
	v_lshlrev_b32_e32 v133, 4, v0
	v_cmp_gt_u32_e32 vcc, s0, v0
	s_movk_i32 s4, 0x64
	s_branch .LBB97_2
.LBB97_1:                               ;   in Loop: Header=BB97_2 Depth=1
	s_or_b64 exec, exec, s[0:1]
	s_add_i32 s4, s4, -1
	s_cmp_lg_u32 s4, 0
	s_waitcnt lgkmcnt(0)
	s_barrier
	s_cbranch_scc0 .LBB97_4
.LBB97_2:                               ; =>This Inner Loop Header: Depth=1
	s_waitcnt vmcnt(28)
	v_mov_b32_e32 v132, v126
	v_mov_b32_e32 v135, v128
	v_mov_b32_e32 v131, v125
	v_mov_b32_e32 v134, v127
	v_mov_b32_e32 v126, v122
	v_mov_b32_e32 v128, v124
	v_mov_b32_e32 v125, v121
	v_mov_b32_e32 v127, v123
	v_mov_b32_e32 v122, v6
	v_mov_b32_e32 v124, v8
	v_mov_b32_e32 v121, v5
	v_mov_b32_e32 v123, v7
	v_mov_b32_e32 v6, v2
	v_mov_b32_e32 v8, v4
	v_mov_b32_e32 v5, v1
	v_mov_b32_e32 v7, v3
	s_waitcnt vmcnt(24)
	v_mov_b32_e32 v1, v117
	v_mov_b32_e32 v3, v119
	v_mov_b32_e32 v2, v118
	v_mov_b32_e32 v4, v120
	v_mov_b32_e32 v118, v114
	v_mov_b32_e32 v120, v116
	v_mov_b32_e32 v117, v113
	v_mov_b32_e32 v119, v115
	v_mov_b32_e32 v114, v110
	v_mov_b32_e32 v116, v112
	v_mov_b32_e32 v113, v109
	v_mov_b32_e32 v115, v111
	v_mov_b32_e32 v110, v102
	v_mov_b32_e32 v112, v104
	v_mov_b32_e32 v109, v101
	v_mov_b32_e32 v111, v103
	;; [unrolled: 17-line block ×8, first 2 shown]
	ds_write2_b64 v133, v[131:132], v[134:135] offset1:1
	s_waitcnt lgkmcnt(0)
	s_barrier
	s_and_saveexec_b64 s[0:1], vcc
	s_cbranch_execz .LBB97_1
; %bb.3:                                ;   in Loop: Header=BB97_2 Depth=1
	ds_read2_b64 v[13:16], v133 offset0:2 offset1:3
	s_branch .LBB97_1
.LBB97_4:
	v_mov_b32_e32 v0, s3
	v_add_co_u32_e32 v129, vcc, s2, v129
	v_addc_co_u32_e32 v130, vcc, v0, v130, vcc
	global_store_dwordx4 v[129:130], v[125:128], off
	global_store_dwordx4 v[129:130], v[121:124], off offset:16
	global_store_dwordx4 v[129:130], v[5:8], off offset:32
	;; [unrolled: 1-line block ×31, first 2 shown]
	s_endpgm
	.section	.rodata,"a",@progbits
	.p2align	6, 0x0
	.amdhsa_kernel _Z6kernelI4downN15benchmark_utils11custom_typeIddEELj256ELj32ELj100EEvPKT0_PS4_
		.amdhsa_group_segment_fixed_size 4096
		.amdhsa_private_segment_fixed_size 0
		.amdhsa_kernarg_size 16
		.amdhsa_user_sgpr_count 6
		.amdhsa_user_sgpr_private_segment_buffer 1
		.amdhsa_user_sgpr_dispatch_ptr 0
		.amdhsa_user_sgpr_queue_ptr 0
		.amdhsa_user_sgpr_kernarg_segment_ptr 1
		.amdhsa_user_sgpr_dispatch_id 0
		.amdhsa_user_sgpr_flat_scratch_init 0
		.amdhsa_user_sgpr_private_segment_size 0
		.amdhsa_uses_dynamic_stack 0
		.amdhsa_system_sgpr_private_segment_wavefront_offset 0
		.amdhsa_system_sgpr_workgroup_id_x 1
		.amdhsa_system_sgpr_workgroup_id_y 0
		.amdhsa_system_sgpr_workgroup_id_z 0
		.amdhsa_system_sgpr_workgroup_info 0
		.amdhsa_system_vgpr_workitem_id 0
		.amdhsa_next_free_vgpr 136
		.amdhsa_next_free_sgpr 7
		.amdhsa_reserve_vcc 1
		.amdhsa_reserve_flat_scratch 0
		.amdhsa_float_round_mode_32 0
		.amdhsa_float_round_mode_16_64 0
		.amdhsa_float_denorm_mode_32 3
		.amdhsa_float_denorm_mode_16_64 3
		.amdhsa_dx10_clamp 1
		.amdhsa_ieee_mode 1
		.amdhsa_fp16_overflow 0
		.amdhsa_exception_fp_ieee_invalid_op 0
		.amdhsa_exception_fp_denorm_src 0
		.amdhsa_exception_fp_ieee_div_zero 0
		.amdhsa_exception_fp_ieee_overflow 0
		.amdhsa_exception_fp_ieee_underflow 0
		.amdhsa_exception_fp_ieee_inexact 0
		.amdhsa_exception_int_div_zero 0
	.end_amdhsa_kernel
	.section	.text._Z6kernelI4downN15benchmark_utils11custom_typeIddEELj256ELj32ELj100EEvPKT0_PS4_,"axG",@progbits,_Z6kernelI4downN15benchmark_utils11custom_typeIddEELj256ELj32ELj100EEvPKT0_PS4_,comdat
.Lfunc_end97:
	.size	_Z6kernelI4downN15benchmark_utils11custom_typeIddEELj256ELj32ELj100EEvPKT0_PS4_, .Lfunc_end97-_Z6kernelI4downN15benchmark_utils11custom_typeIddEELj256ELj32ELj100EEvPKT0_PS4_
                                        ; -- End function
	.set _Z6kernelI4downN15benchmark_utils11custom_typeIddEELj256ELj32ELj100EEvPKT0_PS4_.num_vgpr, 136
	.set _Z6kernelI4downN15benchmark_utils11custom_typeIddEELj256ELj32ELj100EEvPKT0_PS4_.num_agpr, 0
	.set _Z6kernelI4downN15benchmark_utils11custom_typeIddEELj256ELj32ELj100EEvPKT0_PS4_.numbered_sgpr, 7
	.set _Z6kernelI4downN15benchmark_utils11custom_typeIddEELj256ELj32ELj100EEvPKT0_PS4_.num_named_barrier, 0
	.set _Z6kernelI4downN15benchmark_utils11custom_typeIddEELj256ELj32ELj100EEvPKT0_PS4_.private_seg_size, 0
	.set _Z6kernelI4downN15benchmark_utils11custom_typeIddEELj256ELj32ELj100EEvPKT0_PS4_.uses_vcc, 1
	.set _Z6kernelI4downN15benchmark_utils11custom_typeIddEELj256ELj32ELj100EEvPKT0_PS4_.uses_flat_scratch, 0
	.set _Z6kernelI4downN15benchmark_utils11custom_typeIddEELj256ELj32ELj100EEvPKT0_PS4_.has_dyn_sized_stack, 0
	.set _Z6kernelI4downN15benchmark_utils11custom_typeIddEELj256ELj32ELj100EEvPKT0_PS4_.has_recursion, 0
	.set _Z6kernelI4downN15benchmark_utils11custom_typeIddEELj256ELj32ELj100EEvPKT0_PS4_.has_indirect_call, 0
	.section	.AMDGPU.csdata,"",@progbits
; Kernel info:
; codeLenInByte = 1204
; TotalNumSgprs: 11
; NumVgprs: 136
; ScratchSize: 0
; MemoryBound: 1
; FloatMode: 240
; IeeeMode: 1
; LDSByteSize: 4096 bytes/workgroup (compile time only)
; SGPRBlocks: 1
; VGPRBlocks: 33
; NumSGPRsForWavesPerEU: 11
; NumVGPRsForWavesPerEU: 136
; Occupancy: 1
; WaveLimiterHint : 0
; COMPUTE_PGM_RSRC2:SCRATCH_EN: 0
; COMPUTE_PGM_RSRC2:USER_SGPR: 6
; COMPUTE_PGM_RSRC2:TRAP_HANDLER: 0
; COMPUTE_PGM_RSRC2:TGID_X_EN: 1
; COMPUTE_PGM_RSRC2:TGID_Y_EN: 0
; COMPUTE_PGM_RSRC2:TGID_Z_EN: 0
; COMPUTE_PGM_RSRC2:TIDIG_COMP_CNT: 0
	.section	.AMDGPU.gpr_maximums,"",@progbits
	.set amdgpu.max_num_vgpr, 0
	.set amdgpu.max_num_agpr, 0
	.set amdgpu.max_num_sgpr, 0
	.section	.AMDGPU.csdata,"",@progbits
	.type	__hip_cuid_f66028e3f14cbe93,@object ; @__hip_cuid_f66028e3f14cbe93
	.section	.bss,"aw",@nobits
	.globl	__hip_cuid_f66028e3f14cbe93
__hip_cuid_f66028e3f14cbe93:
	.byte	0                               ; 0x0
	.size	__hip_cuid_f66028e3f14cbe93, 1

	.ident	"AMD clang version 22.0.0git (https://github.com/RadeonOpenCompute/llvm-project roc-7.2.4 26084 f58b06dce1f9c15707c5f808fd002e18c2accf7e)"
	.section	".note.GNU-stack","",@progbits
	.addrsig
	.addrsig_sym __hip_cuid_f66028e3f14cbe93
	.amdgpu_metadata
---
amdhsa.kernels:
  - .args:
      - .address_space:  global
        .offset:         0
        .size:           8
        .value_kind:     global_buffer
      - .address_space:  global
        .offset:         8
        .size:           8
        .value_kind:     global_buffer
    .group_segment_fixed_size: 1024
    .kernarg_segment_align: 8
    .kernarg_segment_size: 16
    .language:       OpenCL C
    .language_version:
      - 2
      - 0
    .max_flat_workgroup_size: 256
    .name:           _Z6kernelI6offsetiLj256ELj1ELj100EEvPKT0_PS1_
    .private_segment_fixed_size: 0
    .sgpr_count:     11
    .sgpr_spill_count: 0
    .symbol:         _Z6kernelI6offsetiLj256ELj1ELj100EEvPKT0_PS1_.kd
    .uniform_work_group_size: 1
    .uses_dynamic_stack: false
    .vgpr_count:     5
    .vgpr_spill_count: 0
    .wavefront_size: 64
  - .args:
      - .address_space:  global
        .offset:         0
        .size:           8
        .value_kind:     global_buffer
      - .address_space:  global
        .offset:         8
        .size:           8
        .value_kind:     global_buffer
    .group_segment_fixed_size: 1024
    .kernarg_segment_align: 8
    .kernarg_segment_size: 16
    .language:       OpenCL C
    .language_version:
      - 2
      - 0
    .max_flat_workgroup_size: 256
    .name:           _Z6kernelI6offsetfLj256ELj1ELj100EEvPKT0_PS1_
    .private_segment_fixed_size: 0
    .sgpr_count:     11
    .sgpr_spill_count: 0
    .symbol:         _Z6kernelI6offsetfLj256ELj1ELj100EEvPKT0_PS1_.kd
    .uniform_work_group_size: 1
    .uses_dynamic_stack: false
    .vgpr_count:     5
    .vgpr_spill_count: 0
    .wavefront_size: 64
  - .args:
      - .address_space:  global
        .offset:         0
        .size:           8
        .value_kind:     global_buffer
      - .address_space:  global
        .offset:         8
        .size:           8
        .value_kind:     global_buffer
    .group_segment_fixed_size: 2048
    .kernarg_segment_align: 8
    .kernarg_segment_size: 16
    .language:       OpenCL C
    .language_version:
      - 2
      - 0
    .max_flat_workgroup_size: 256
    .name:           _Z6kernelI6offsetdLj256ELj1ELj100EEvPKT0_PS1_
    .private_segment_fixed_size: 0
    .sgpr_count:     11
    .sgpr_spill_count: 0
    .symbol:         _Z6kernelI6offsetdLj256ELj1ELj100EEvPKT0_PS1_.kd
    .uniform_work_group_size: 1
    .uses_dynamic_stack: false
    .vgpr_count:     6
    .vgpr_spill_count: 0
    .wavefront_size: 64
  - .args:
      - .address_space:  global
        .offset:         0
        .size:           8
        .value_kind:     global_buffer
      - .address_space:  global
        .offset:         8
        .size:           8
        .value_kind:     global_buffer
    .group_segment_fixed_size: 256
    .kernarg_segment_align: 8
    .kernarg_segment_size: 16
    .language:       OpenCL C
    .language_version:
      - 2
      - 0
    .max_flat_workgroup_size: 256
    .name:           _Z6kernelI6offsetaLj256ELj1ELj100EEvPKT0_PS1_
    .private_segment_fixed_size: 0
    .sgpr_count:     11
    .sgpr_spill_count: 0
    .symbol:         _Z6kernelI6offsetaLj256ELj1ELj100EEvPKT0_PS1_.kd
    .uniform_work_group_size: 1
    .uses_dynamic_stack: false
    .vgpr_count:     4
    .vgpr_spill_count: 0
    .wavefront_size: 64
  - .args:
      - .address_space:  global
        .offset:         0
        .size:           8
        .value_kind:     global_buffer
      - .address_space:  global
        .offset:         8
        .size:           8
        .value_kind:     global_buffer
    .group_segment_fixed_size: 2048
    .kernarg_segment_align: 8
    .kernarg_segment_size: 16
    .language:       OpenCL C
    .language_version:
      - 2
      - 0
    .max_flat_workgroup_size: 256
    .name:           _Z6kernelI6offsetxLj256ELj1ELj100EEvPKT0_PS1_
    .private_segment_fixed_size: 0
    .sgpr_count:     11
    .sgpr_spill_count: 0
    .symbol:         _Z6kernelI6offsetxLj256ELj1ELj100EEvPKT0_PS1_.kd
    .uniform_work_group_size: 1
    .uses_dynamic_stack: false
    .vgpr_count:     6
    .vgpr_spill_count: 0
    .wavefront_size: 64
  - .args:
      - .address_space:  global
        .offset:         0
        .size:           8
        .value_kind:     global_buffer
      - .address_space:  global
        .offset:         8
        .size:           8
        .value_kind:     global_buffer
    .group_segment_fixed_size: 2048
    .kernarg_segment_align: 8
    .kernarg_segment_size: 16
    .language:       OpenCL C
    .language_version:
      - 2
      - 0
    .max_flat_workgroup_size: 256
    .name:           _Z6kernelI6offsetN15benchmark_utils11custom_typeIffEELj256ELj1ELj100EEvPKT0_PS4_
    .private_segment_fixed_size: 0
    .sgpr_count:     11
    .sgpr_spill_count: 0
    .symbol:         _Z6kernelI6offsetN15benchmark_utils11custom_typeIffEELj256ELj1ELj100EEvPKT0_PS4_.kd
    .uniform_work_group_size: 1
    .uses_dynamic_stack: false
    .vgpr_count:     6
    .vgpr_spill_count: 0
    .wavefront_size: 64
  - .args:
      - .address_space:  global
        .offset:         0
        .size:           8
        .value_kind:     global_buffer
      - .address_space:  global
        .offset:         8
        .size:           8
        .value_kind:     global_buffer
    .group_segment_fixed_size: 4096
    .kernarg_segment_align: 8
    .kernarg_segment_size: 16
    .language:       OpenCL C
    .language_version:
      - 2
      - 0
    .max_flat_workgroup_size: 256
    .name:           _Z6kernelI6offsetN15benchmark_utils11custom_typeIddEELj256ELj1ELj100EEvPKT0_PS4_
    .private_segment_fixed_size: 0
    .sgpr_count:     11
    .sgpr_spill_count: 0
    .symbol:         _Z6kernelI6offsetN15benchmark_utils11custom_typeIddEELj256ELj1ELj100EEvPKT0_PS4_.kd
    .uniform_work_group_size: 1
    .uses_dynamic_stack: false
    .vgpr_count:     8
    .vgpr_spill_count: 0
    .wavefront_size: 64
  - .args:
      - .address_space:  global
        .offset:         0
        .size:           8
        .value_kind:     global_buffer
      - .address_space:  global
        .offset:         8
        .size:           8
        .value_kind:     global_buffer
    .group_segment_fixed_size: 1024
    .kernarg_segment_align: 8
    .kernarg_segment_size: 16
    .language:       OpenCL C
    .language_version:
      - 2
      - 0
    .max_flat_workgroup_size: 256
    .name:           _Z6kernelI6rotateiLj256ELj1ELj100EEvPKT0_PS1_
    .private_segment_fixed_size: 0
    .sgpr_count:     11
    .sgpr_spill_count: 0
    .symbol:         _Z6kernelI6rotateiLj256ELj1ELj100EEvPKT0_PS1_.kd
    .uniform_work_group_size: 1
    .uses_dynamic_stack: false
    .vgpr_count:     6
    .vgpr_spill_count: 0
    .wavefront_size: 64
  - .args:
      - .address_space:  global
        .offset:         0
        .size:           8
        .value_kind:     global_buffer
      - .address_space:  global
        .offset:         8
        .size:           8
        .value_kind:     global_buffer
    .group_segment_fixed_size: 1024
    .kernarg_segment_align: 8
    .kernarg_segment_size: 16
    .language:       OpenCL C
    .language_version:
      - 2
      - 0
    .max_flat_workgroup_size: 256
    .name:           _Z6kernelI6rotatefLj256ELj1ELj100EEvPKT0_PS1_
    .private_segment_fixed_size: 0
    .sgpr_count:     11
    .sgpr_spill_count: 0
    .symbol:         _Z6kernelI6rotatefLj256ELj1ELj100EEvPKT0_PS1_.kd
    .uniform_work_group_size: 1
    .uses_dynamic_stack: false
    .vgpr_count:     6
    .vgpr_spill_count: 0
    .wavefront_size: 64
  - .args:
      - .address_space:  global
        .offset:         0
        .size:           8
        .value_kind:     global_buffer
      - .address_space:  global
        .offset:         8
        .size:           8
        .value_kind:     global_buffer
    .group_segment_fixed_size: 2048
    .kernarg_segment_align: 8
    .kernarg_segment_size: 16
    .language:       OpenCL C
    .language_version:
      - 2
      - 0
    .max_flat_workgroup_size: 256
    .name:           _Z6kernelI6rotatedLj256ELj1ELj100EEvPKT0_PS1_
    .private_segment_fixed_size: 0
    .sgpr_count:     11
    .sgpr_spill_count: 0
    .symbol:         _Z6kernelI6rotatedLj256ELj1ELj100EEvPKT0_PS1_.kd
    .uniform_work_group_size: 1
    .uses_dynamic_stack: false
    .vgpr_count:     7
    .vgpr_spill_count: 0
    .wavefront_size: 64
  - .args:
      - .address_space:  global
        .offset:         0
        .size:           8
        .value_kind:     global_buffer
      - .address_space:  global
        .offset:         8
        .size:           8
        .value_kind:     global_buffer
    .group_segment_fixed_size: 256
    .kernarg_segment_align: 8
    .kernarg_segment_size: 16
    .language:       OpenCL C
    .language_version:
      - 2
      - 0
    .max_flat_workgroup_size: 256
    .name:           _Z6kernelI6rotateaLj256ELj1ELj100EEvPKT0_PS1_
    .private_segment_fixed_size: 0
    .sgpr_count:     11
    .sgpr_spill_count: 0
    .symbol:         _Z6kernelI6rotateaLj256ELj1ELj100EEvPKT0_PS1_.kd
    .uniform_work_group_size: 1
    .uses_dynamic_stack: false
    .vgpr_count:     4
    .vgpr_spill_count: 0
    .wavefront_size: 64
  - .args:
      - .address_space:  global
        .offset:         0
        .size:           8
        .value_kind:     global_buffer
      - .address_space:  global
        .offset:         8
        .size:           8
        .value_kind:     global_buffer
    .group_segment_fixed_size: 2048
    .kernarg_segment_align: 8
    .kernarg_segment_size: 16
    .language:       OpenCL C
    .language_version:
      - 2
      - 0
    .max_flat_workgroup_size: 256
    .name:           _Z6kernelI6rotatexLj256ELj1ELj100EEvPKT0_PS1_
    .private_segment_fixed_size: 0
    .sgpr_count:     11
    .sgpr_spill_count: 0
    .symbol:         _Z6kernelI6rotatexLj256ELj1ELj100EEvPKT0_PS1_.kd
    .uniform_work_group_size: 1
    .uses_dynamic_stack: false
    .vgpr_count:     7
    .vgpr_spill_count: 0
    .wavefront_size: 64
  - .args:
      - .address_space:  global
        .offset:         0
        .size:           8
        .value_kind:     global_buffer
      - .address_space:  global
        .offset:         8
        .size:           8
        .value_kind:     global_buffer
    .group_segment_fixed_size: 2048
    .kernarg_segment_align: 8
    .kernarg_segment_size: 16
    .language:       OpenCL C
    .language_version:
      - 2
      - 0
    .max_flat_workgroup_size: 256
    .name:           _Z6kernelI6rotateN15benchmark_utils11custom_typeIffEELj256ELj1ELj100EEvPKT0_PS4_
    .private_segment_fixed_size: 0
    .sgpr_count:     11
    .sgpr_spill_count: 0
    .symbol:         _Z6kernelI6rotateN15benchmark_utils11custom_typeIffEELj256ELj1ELj100EEvPKT0_PS4_.kd
    .uniform_work_group_size: 1
    .uses_dynamic_stack: false
    .vgpr_count:     7
    .vgpr_spill_count: 0
    .wavefront_size: 64
  - .args:
      - .address_space:  global
        .offset:         0
        .size:           8
        .value_kind:     global_buffer
      - .address_space:  global
        .offset:         8
        .size:           8
        .value_kind:     global_buffer
    .group_segment_fixed_size: 4096
    .kernarg_segment_align: 8
    .kernarg_segment_size: 16
    .language:       OpenCL C
    .language_version:
      - 2
      - 0
    .max_flat_workgroup_size: 256
    .name:           _Z6kernelI6rotateN15benchmark_utils11custom_typeIddEELj256ELj1ELj100EEvPKT0_PS4_
    .private_segment_fixed_size: 0
    .sgpr_count:     11
    .sgpr_spill_count: 0
    .symbol:         _Z6kernelI6rotateN15benchmark_utils11custom_typeIddEELj256ELj1ELj100EEvPKT0_PS4_.kd
    .uniform_work_group_size: 1
    .uses_dynamic_stack: false
    .vgpr_count:     9
    .vgpr_spill_count: 0
    .wavefront_size: 64
  - .args:
      - .address_space:  global
        .offset:         0
        .size:           8
        .value_kind:     global_buffer
      - .address_space:  global
        .offset:         8
        .size:           8
        .value_kind:     global_buffer
    .group_segment_fixed_size: 1024
    .kernarg_segment_align: 8
    .kernarg_segment_size: 16
    .language:       OpenCL C
    .language_version:
      - 2
      - 0
    .max_flat_workgroup_size: 256
    .name:           _Z6kernelI2upiLj256ELj1ELj100EEvPKT0_PS1_
    .private_segment_fixed_size: 0
    .sgpr_count:     11
    .sgpr_spill_count: 0
    .symbol:         _Z6kernelI2upiLj256ELj1ELj100EEvPKT0_PS1_.kd
    .uniform_work_group_size: 1
    .uses_dynamic_stack: false
    .vgpr_count:     5
    .vgpr_spill_count: 0
    .wavefront_size: 64
  - .args:
      - .address_space:  global
        .offset:         0
        .size:           8
        .value_kind:     global_buffer
      - .address_space:  global
        .offset:         8
        .size:           8
        .value_kind:     global_buffer
    .group_segment_fixed_size: 1024
    .kernarg_segment_align: 8
    .kernarg_segment_size: 16
    .language:       OpenCL C
    .language_version:
      - 2
      - 0
    .max_flat_workgroup_size: 256
    .name:           _Z6kernelI2upiLj256ELj3ELj100EEvPKT0_PS1_
    .private_segment_fixed_size: 0
    .sgpr_count:     11
    .sgpr_spill_count: 0
    .symbol:         _Z6kernelI2upiLj256ELj3ELj100EEvPKT0_PS1_.kd
    .uniform_work_group_size: 1
    .uses_dynamic_stack: false
    .vgpr_count:     16
    .vgpr_spill_count: 0
    .wavefront_size: 64
  - .args:
      - .address_space:  global
        .offset:         0
        .size:           8
        .value_kind:     global_buffer
      - .address_space:  global
        .offset:         8
        .size:           8
        .value_kind:     global_buffer
    .group_segment_fixed_size: 1024
    .kernarg_segment_align: 8
    .kernarg_segment_size: 16
    .language:       OpenCL C
    .language_version:
      - 2
      - 0
    .max_flat_workgroup_size: 256
    .name:           _Z6kernelI2upiLj256ELj4ELj100EEvPKT0_PS1_
    .private_segment_fixed_size: 0
    .sgpr_count:     11
    .sgpr_spill_count: 0
    .symbol:         _Z6kernelI2upiLj256ELj4ELj100EEvPKT0_PS1_.kd
    .uniform_work_group_size: 1
    .uses_dynamic_stack: false
    .vgpr_count:     9
    .vgpr_spill_count: 0
    .wavefront_size: 64
  - .args:
      - .address_space:  global
        .offset:         0
        .size:           8
        .value_kind:     global_buffer
      - .address_space:  global
        .offset:         8
        .size:           8
        .value_kind:     global_buffer
    .group_segment_fixed_size: 1024
    .kernarg_segment_align: 8
    .kernarg_segment_size: 16
    .language:       OpenCL C
    .language_version:
      - 2
      - 0
    .max_flat_workgroup_size: 256
    .name:           _Z6kernelI2upiLj256ELj8ELj100EEvPKT0_PS1_
    .private_segment_fixed_size: 0
    .sgpr_count:     11
    .sgpr_spill_count: 0
    .symbol:         _Z6kernelI2upiLj256ELj8ELj100EEvPKT0_PS1_.kd
    .uniform_work_group_size: 1
    .uses_dynamic_stack: false
    .vgpr_count:     13
    .vgpr_spill_count: 0
    .wavefront_size: 64
  - .args:
      - .address_space:  global
        .offset:         0
        .size:           8
        .value_kind:     global_buffer
      - .address_space:  global
        .offset:         8
        .size:           8
        .value_kind:     global_buffer
    .group_segment_fixed_size: 1024
    .kernarg_segment_align: 8
    .kernarg_segment_size: 16
    .language:       OpenCL C
    .language_version:
      - 2
      - 0
    .max_flat_workgroup_size: 256
    .name:           _Z6kernelI2upiLj256ELj16ELj100EEvPKT0_PS1_
    .private_segment_fixed_size: 0
    .sgpr_count:     11
    .sgpr_spill_count: 0
    .symbol:         _Z6kernelI2upiLj256ELj16ELj100EEvPKT0_PS1_.kd
    .uniform_work_group_size: 1
    .uses_dynamic_stack: false
    .vgpr_count:     21
    .vgpr_spill_count: 0
    .wavefront_size: 64
  - .args:
      - .address_space:  global
        .offset:         0
        .size:           8
        .value_kind:     global_buffer
      - .address_space:  global
        .offset:         8
        .size:           8
        .value_kind:     global_buffer
    .group_segment_fixed_size: 1024
    .kernarg_segment_align: 8
    .kernarg_segment_size: 16
    .language:       OpenCL C
    .language_version:
      - 2
      - 0
    .max_flat_workgroup_size: 256
    .name:           _Z6kernelI2upiLj256ELj32ELj100EEvPKT0_PS1_
    .private_segment_fixed_size: 0
    .sgpr_count:     11
    .sgpr_spill_count: 0
    .symbol:         _Z6kernelI2upiLj256ELj32ELj100EEvPKT0_PS1_.kd
    .uniform_work_group_size: 1
    .uses_dynamic_stack: false
    .vgpr_count:     37
    .vgpr_spill_count: 0
    .wavefront_size: 64
  - .args:
      - .address_space:  global
        .offset:         0
        .size:           8
        .value_kind:     global_buffer
      - .address_space:  global
        .offset:         8
        .size:           8
        .value_kind:     global_buffer
    .group_segment_fixed_size: 1024
    .kernarg_segment_align: 8
    .kernarg_segment_size: 16
    .language:       OpenCL C
    .language_version:
      - 2
      - 0
    .max_flat_workgroup_size: 256
    .name:           _Z6kernelI2upfLj256ELj1ELj100EEvPKT0_PS1_
    .private_segment_fixed_size: 0
    .sgpr_count:     11
    .sgpr_spill_count: 0
    .symbol:         _Z6kernelI2upfLj256ELj1ELj100EEvPKT0_PS1_.kd
    .uniform_work_group_size: 1
    .uses_dynamic_stack: false
    .vgpr_count:     5
    .vgpr_spill_count: 0
    .wavefront_size: 64
  - .args:
      - .address_space:  global
        .offset:         0
        .size:           8
        .value_kind:     global_buffer
      - .address_space:  global
        .offset:         8
        .size:           8
        .value_kind:     global_buffer
    .group_segment_fixed_size: 1024
    .kernarg_segment_align: 8
    .kernarg_segment_size: 16
    .language:       OpenCL C
    .language_version:
      - 2
      - 0
    .max_flat_workgroup_size: 256
    .name:           _Z6kernelI2upfLj256ELj3ELj100EEvPKT0_PS1_
    .private_segment_fixed_size: 0
    .sgpr_count:     11
    .sgpr_spill_count: 0
    .symbol:         _Z6kernelI2upfLj256ELj3ELj100EEvPKT0_PS1_.kd
    .uniform_work_group_size: 1
    .uses_dynamic_stack: false
    .vgpr_count:     16
    .vgpr_spill_count: 0
    .wavefront_size: 64
  - .args:
      - .address_space:  global
        .offset:         0
        .size:           8
        .value_kind:     global_buffer
      - .address_space:  global
        .offset:         8
        .size:           8
        .value_kind:     global_buffer
    .group_segment_fixed_size: 1024
    .kernarg_segment_align: 8
    .kernarg_segment_size: 16
    .language:       OpenCL C
    .language_version:
      - 2
      - 0
    .max_flat_workgroup_size: 256
    .name:           _Z6kernelI2upfLj256ELj4ELj100EEvPKT0_PS1_
    .private_segment_fixed_size: 0
    .sgpr_count:     11
    .sgpr_spill_count: 0
    .symbol:         _Z6kernelI2upfLj256ELj4ELj100EEvPKT0_PS1_.kd
    .uniform_work_group_size: 1
    .uses_dynamic_stack: false
    .vgpr_count:     9
    .vgpr_spill_count: 0
    .wavefront_size: 64
  - .args:
      - .address_space:  global
        .offset:         0
        .size:           8
        .value_kind:     global_buffer
      - .address_space:  global
        .offset:         8
        .size:           8
        .value_kind:     global_buffer
    .group_segment_fixed_size: 1024
    .kernarg_segment_align: 8
    .kernarg_segment_size: 16
    .language:       OpenCL C
    .language_version:
      - 2
      - 0
    .max_flat_workgroup_size: 256
    .name:           _Z6kernelI2upfLj256ELj8ELj100EEvPKT0_PS1_
    .private_segment_fixed_size: 0
    .sgpr_count:     11
    .sgpr_spill_count: 0
    .symbol:         _Z6kernelI2upfLj256ELj8ELj100EEvPKT0_PS1_.kd
    .uniform_work_group_size: 1
    .uses_dynamic_stack: false
    .vgpr_count:     13
    .vgpr_spill_count: 0
    .wavefront_size: 64
  - .args:
      - .address_space:  global
        .offset:         0
        .size:           8
        .value_kind:     global_buffer
      - .address_space:  global
        .offset:         8
        .size:           8
        .value_kind:     global_buffer
    .group_segment_fixed_size: 1024
    .kernarg_segment_align: 8
    .kernarg_segment_size: 16
    .language:       OpenCL C
    .language_version:
      - 2
      - 0
    .max_flat_workgroup_size: 256
    .name:           _Z6kernelI2upfLj256ELj16ELj100EEvPKT0_PS1_
    .private_segment_fixed_size: 0
    .sgpr_count:     11
    .sgpr_spill_count: 0
    .symbol:         _Z6kernelI2upfLj256ELj16ELj100EEvPKT0_PS1_.kd
    .uniform_work_group_size: 1
    .uses_dynamic_stack: false
    .vgpr_count:     21
    .vgpr_spill_count: 0
    .wavefront_size: 64
  - .args:
      - .address_space:  global
        .offset:         0
        .size:           8
        .value_kind:     global_buffer
      - .address_space:  global
        .offset:         8
        .size:           8
        .value_kind:     global_buffer
    .group_segment_fixed_size: 1024
    .kernarg_segment_align: 8
    .kernarg_segment_size: 16
    .language:       OpenCL C
    .language_version:
      - 2
      - 0
    .max_flat_workgroup_size: 256
    .name:           _Z6kernelI2upfLj256ELj32ELj100EEvPKT0_PS1_
    .private_segment_fixed_size: 0
    .sgpr_count:     11
    .sgpr_spill_count: 0
    .symbol:         _Z6kernelI2upfLj256ELj32ELj100EEvPKT0_PS1_.kd
    .uniform_work_group_size: 1
    .uses_dynamic_stack: false
    .vgpr_count:     37
    .vgpr_spill_count: 0
    .wavefront_size: 64
  - .args:
      - .address_space:  global
        .offset:         0
        .size:           8
        .value_kind:     global_buffer
      - .address_space:  global
        .offset:         8
        .size:           8
        .value_kind:     global_buffer
    .group_segment_fixed_size: 2048
    .kernarg_segment_align: 8
    .kernarg_segment_size: 16
    .language:       OpenCL C
    .language_version:
      - 2
      - 0
    .max_flat_workgroup_size: 256
    .name:           _Z6kernelI2updLj256ELj1ELj100EEvPKT0_PS1_
    .private_segment_fixed_size: 0
    .sgpr_count:     11
    .sgpr_spill_count: 0
    .symbol:         _Z6kernelI2updLj256ELj1ELj100EEvPKT0_PS1_.kd
    .uniform_work_group_size: 1
    .uses_dynamic_stack: false
    .vgpr_count:     6
    .vgpr_spill_count: 0
    .wavefront_size: 64
  - .args:
      - .address_space:  global
        .offset:         0
        .size:           8
        .value_kind:     global_buffer
      - .address_space:  global
        .offset:         8
        .size:           8
        .value_kind:     global_buffer
    .group_segment_fixed_size: 2048
    .kernarg_segment_align: 8
    .kernarg_segment_size: 16
    .language:       OpenCL C
    .language_version:
      - 2
      - 0
    .max_flat_workgroup_size: 256
    .name:           _Z6kernelI2updLj256ELj3ELj100EEvPKT0_PS1_
    .private_segment_fixed_size: 0
    .sgpr_count:     11
    .sgpr_spill_count: 0
    .symbol:         _Z6kernelI2updLj256ELj3ELj100EEvPKT0_PS1_.kd
    .uniform_work_group_size: 1
    .uses_dynamic_stack: false
    .vgpr_count:     19
    .vgpr_spill_count: 0
    .wavefront_size: 64
  - .args:
      - .address_space:  global
        .offset:         0
        .size:           8
        .value_kind:     global_buffer
      - .address_space:  global
        .offset:         8
        .size:           8
        .value_kind:     global_buffer
    .group_segment_fixed_size: 2048
    .kernarg_segment_align: 8
    .kernarg_segment_size: 16
    .language:       OpenCL C
    .language_version:
      - 2
      - 0
    .max_flat_workgroup_size: 256
    .name:           _Z6kernelI2updLj256ELj4ELj100EEvPKT0_PS1_
    .private_segment_fixed_size: 0
    .sgpr_count:     11
    .sgpr_spill_count: 0
    .symbol:         _Z6kernelI2updLj256ELj4ELj100EEvPKT0_PS1_.kd
    .uniform_work_group_size: 1
    .uses_dynamic_stack: false
    .vgpr_count:     14
    .vgpr_spill_count: 0
    .wavefront_size: 64
  - .args:
      - .address_space:  global
        .offset:         0
        .size:           8
        .value_kind:     global_buffer
      - .address_space:  global
        .offset:         8
        .size:           8
        .value_kind:     global_buffer
    .group_segment_fixed_size: 2048
    .kernarg_segment_align: 8
    .kernarg_segment_size: 16
    .language:       OpenCL C
    .language_version:
      - 2
      - 0
    .max_flat_workgroup_size: 256
    .name:           _Z6kernelI2updLj256ELj8ELj100EEvPKT0_PS1_
    .private_segment_fixed_size: 0
    .sgpr_count:     11
    .sgpr_spill_count: 0
    .symbol:         _Z6kernelI2updLj256ELj8ELj100EEvPKT0_PS1_.kd
    .uniform_work_group_size: 1
    .uses_dynamic_stack: false
    .vgpr_count:     23
    .vgpr_spill_count: 0
    .wavefront_size: 64
  - .args:
      - .address_space:  global
        .offset:         0
        .size:           8
        .value_kind:     global_buffer
      - .address_space:  global
        .offset:         8
        .size:           8
        .value_kind:     global_buffer
    .group_segment_fixed_size: 2048
    .kernarg_segment_align: 8
    .kernarg_segment_size: 16
    .language:       OpenCL C
    .language_version:
      - 2
      - 0
    .max_flat_workgroup_size: 256
    .name:           _Z6kernelI2updLj256ELj16ELj100EEvPKT0_PS1_
    .private_segment_fixed_size: 0
    .sgpr_count:     11
    .sgpr_spill_count: 0
    .symbol:         _Z6kernelI2updLj256ELj16ELj100EEvPKT0_PS1_.kd
    .uniform_work_group_size: 1
    .uses_dynamic_stack: false
    .vgpr_count:     38
    .vgpr_spill_count: 0
    .wavefront_size: 64
  - .args:
      - .address_space:  global
        .offset:         0
        .size:           8
        .value_kind:     global_buffer
      - .address_space:  global
        .offset:         8
        .size:           8
        .value_kind:     global_buffer
    .group_segment_fixed_size: 2048
    .kernarg_segment_align: 8
    .kernarg_segment_size: 16
    .language:       OpenCL C
    .language_version:
      - 2
      - 0
    .max_flat_workgroup_size: 256
    .name:           _Z6kernelI2updLj256ELj32ELj100EEvPKT0_PS1_
    .private_segment_fixed_size: 0
    .sgpr_count:     11
    .sgpr_spill_count: 0
    .symbol:         _Z6kernelI2updLj256ELj32ELj100EEvPKT0_PS1_.kd
    .uniform_work_group_size: 1
    .uses_dynamic_stack: false
    .vgpr_count:     70
    .vgpr_spill_count: 0
    .wavefront_size: 64
  - .args:
      - .address_space:  global
        .offset:         0
        .size:           8
        .value_kind:     global_buffer
      - .address_space:  global
        .offset:         8
        .size:           8
        .value_kind:     global_buffer
    .group_segment_fixed_size: 256
    .kernarg_segment_align: 8
    .kernarg_segment_size: 16
    .language:       OpenCL C
    .language_version:
      - 2
      - 0
    .max_flat_workgroup_size: 256
    .name:           _Z6kernelI2upaLj256ELj1ELj100EEvPKT0_PS1_
    .private_segment_fixed_size: 0
    .sgpr_count:     11
    .sgpr_spill_count: 0
    .symbol:         _Z6kernelI2upaLj256ELj1ELj100EEvPKT0_PS1_.kd
    .uniform_work_group_size: 1
    .uses_dynamic_stack: false
    .vgpr_count:     4
    .vgpr_spill_count: 0
    .wavefront_size: 64
  - .args:
      - .address_space:  global
        .offset:         0
        .size:           8
        .value_kind:     global_buffer
      - .address_space:  global
        .offset:         8
        .size:           8
        .value_kind:     global_buffer
    .group_segment_fixed_size: 256
    .kernarg_segment_align: 8
    .kernarg_segment_size: 16
    .language:       OpenCL C
    .language_version:
      - 2
      - 0
    .max_flat_workgroup_size: 256
    .name:           _Z6kernelI2upaLj256ELj3ELj100EEvPKT0_PS1_
    .private_segment_fixed_size: 0
    .sgpr_count:     11
    .sgpr_spill_count: 0
    .symbol:         _Z6kernelI2upaLj256ELj3ELj100EEvPKT0_PS1_.kd
    .uniform_work_group_size: 1
    .uses_dynamic_stack: false
    .vgpr_count:     8
    .vgpr_spill_count: 0
    .wavefront_size: 64
  - .args:
      - .address_space:  global
        .offset:         0
        .size:           8
        .value_kind:     global_buffer
      - .address_space:  global
        .offset:         8
        .size:           8
        .value_kind:     global_buffer
    .group_segment_fixed_size: 256
    .kernarg_segment_align: 8
    .kernarg_segment_size: 16
    .language:       OpenCL C
    .language_version:
      - 2
      - 0
    .max_flat_workgroup_size: 256
    .name:           _Z6kernelI2upaLj256ELj4ELj100EEvPKT0_PS1_
    .private_segment_fixed_size: 0
    .sgpr_count:     11
    .sgpr_spill_count: 0
    .symbol:         _Z6kernelI2upaLj256ELj4ELj100EEvPKT0_PS1_.kd
    .uniform_work_group_size: 1
    .uses_dynamic_stack: false
    .vgpr_count:     5
    .vgpr_spill_count: 0
    .wavefront_size: 64
  - .args:
      - .address_space:  global
        .offset:         0
        .size:           8
        .value_kind:     global_buffer
      - .address_space:  global
        .offset:         8
        .size:           8
        .value_kind:     global_buffer
    .group_segment_fixed_size: 256
    .kernarg_segment_align: 8
    .kernarg_segment_size: 16
    .language:       OpenCL C
    .language_version:
      - 2
      - 0
    .max_flat_workgroup_size: 256
    .name:           _Z6kernelI2upaLj256ELj8ELj100EEvPKT0_PS1_
    .private_segment_fixed_size: 0
    .sgpr_count:     12
    .sgpr_spill_count: 0
    .symbol:         _Z6kernelI2upaLj256ELj8ELj100EEvPKT0_PS1_.kd
    .uniform_work_group_size: 1
    .uses_dynamic_stack: false
    .vgpr_count:     6
    .vgpr_spill_count: 0
    .wavefront_size: 64
  - .args:
      - .address_space:  global
        .offset:         0
        .size:           8
        .value_kind:     global_buffer
      - .address_space:  global
        .offset:         8
        .size:           8
        .value_kind:     global_buffer
    .group_segment_fixed_size: 256
    .kernarg_segment_align: 8
    .kernarg_segment_size: 16
    .language:       OpenCL C
    .language_version:
      - 2
      - 0
    .max_flat_workgroup_size: 256
    .name:           _Z6kernelI2upaLj256ELj16ELj100EEvPKT0_PS1_
    .private_segment_fixed_size: 0
    .sgpr_count:     12
    .sgpr_spill_count: 0
    .symbol:         _Z6kernelI2upaLj256ELj16ELj100EEvPKT0_PS1_.kd
    .uniform_work_group_size: 1
    .uses_dynamic_stack: false
    .vgpr_count:     8
    .vgpr_spill_count: 0
    .wavefront_size: 64
  - .args:
      - .address_space:  global
        .offset:         0
        .size:           8
        .value_kind:     global_buffer
      - .address_space:  global
        .offset:         8
        .size:           8
        .value_kind:     global_buffer
    .group_segment_fixed_size: 256
    .kernarg_segment_align: 8
    .kernarg_segment_size: 16
    .language:       OpenCL C
    .language_version:
      - 2
      - 0
    .max_flat_workgroup_size: 256
    .name:           _Z6kernelI2upaLj256ELj32ELj100EEvPKT0_PS1_
    .private_segment_fixed_size: 0
    .sgpr_count:     12
    .sgpr_spill_count: 0
    .symbol:         _Z6kernelI2upaLj256ELj32ELj100EEvPKT0_PS1_.kd
    .uniform_work_group_size: 1
    .uses_dynamic_stack: false
    .vgpr_count:     12
    .vgpr_spill_count: 0
    .wavefront_size: 64
  - .args:
      - .address_space:  global
        .offset:         0
        .size:           8
        .value_kind:     global_buffer
      - .address_space:  global
        .offset:         8
        .size:           8
        .value_kind:     global_buffer
    .group_segment_fixed_size: 2048
    .kernarg_segment_align: 8
    .kernarg_segment_size: 16
    .language:       OpenCL C
    .language_version:
      - 2
      - 0
    .max_flat_workgroup_size: 256
    .name:           _Z6kernelI2upxLj256ELj1ELj100EEvPKT0_PS1_
    .private_segment_fixed_size: 0
    .sgpr_count:     11
    .sgpr_spill_count: 0
    .symbol:         _Z6kernelI2upxLj256ELj1ELj100EEvPKT0_PS1_.kd
    .uniform_work_group_size: 1
    .uses_dynamic_stack: false
    .vgpr_count:     6
    .vgpr_spill_count: 0
    .wavefront_size: 64
  - .args:
      - .address_space:  global
        .offset:         0
        .size:           8
        .value_kind:     global_buffer
      - .address_space:  global
        .offset:         8
        .size:           8
        .value_kind:     global_buffer
    .group_segment_fixed_size: 2048
    .kernarg_segment_align: 8
    .kernarg_segment_size: 16
    .language:       OpenCL C
    .language_version:
      - 2
      - 0
    .max_flat_workgroup_size: 256
    .name:           _Z6kernelI2upxLj256ELj3ELj100EEvPKT0_PS1_
    .private_segment_fixed_size: 0
    .sgpr_count:     11
    .sgpr_spill_count: 0
    .symbol:         _Z6kernelI2upxLj256ELj3ELj100EEvPKT0_PS1_.kd
    .uniform_work_group_size: 1
    .uses_dynamic_stack: false
    .vgpr_count:     19
    .vgpr_spill_count: 0
    .wavefront_size: 64
  - .args:
      - .address_space:  global
        .offset:         0
        .size:           8
        .value_kind:     global_buffer
      - .address_space:  global
        .offset:         8
        .size:           8
        .value_kind:     global_buffer
    .group_segment_fixed_size: 2048
    .kernarg_segment_align: 8
    .kernarg_segment_size: 16
    .language:       OpenCL C
    .language_version:
      - 2
      - 0
    .max_flat_workgroup_size: 256
    .name:           _Z6kernelI2upxLj256ELj4ELj100EEvPKT0_PS1_
    .private_segment_fixed_size: 0
    .sgpr_count:     11
    .sgpr_spill_count: 0
    .symbol:         _Z6kernelI2upxLj256ELj4ELj100EEvPKT0_PS1_.kd
    .uniform_work_group_size: 1
    .uses_dynamic_stack: false
    .vgpr_count:     14
    .vgpr_spill_count: 0
    .wavefront_size: 64
  - .args:
      - .address_space:  global
        .offset:         0
        .size:           8
        .value_kind:     global_buffer
      - .address_space:  global
        .offset:         8
        .size:           8
        .value_kind:     global_buffer
    .group_segment_fixed_size: 2048
    .kernarg_segment_align: 8
    .kernarg_segment_size: 16
    .language:       OpenCL C
    .language_version:
      - 2
      - 0
    .max_flat_workgroup_size: 256
    .name:           _Z6kernelI2upxLj256ELj8ELj100EEvPKT0_PS1_
    .private_segment_fixed_size: 0
    .sgpr_count:     11
    .sgpr_spill_count: 0
    .symbol:         _Z6kernelI2upxLj256ELj8ELj100EEvPKT0_PS1_.kd
    .uniform_work_group_size: 1
    .uses_dynamic_stack: false
    .vgpr_count:     23
    .vgpr_spill_count: 0
    .wavefront_size: 64
  - .args:
      - .address_space:  global
        .offset:         0
        .size:           8
        .value_kind:     global_buffer
      - .address_space:  global
        .offset:         8
        .size:           8
        .value_kind:     global_buffer
    .group_segment_fixed_size: 2048
    .kernarg_segment_align: 8
    .kernarg_segment_size: 16
    .language:       OpenCL C
    .language_version:
      - 2
      - 0
    .max_flat_workgroup_size: 256
    .name:           _Z6kernelI2upxLj256ELj16ELj100EEvPKT0_PS1_
    .private_segment_fixed_size: 0
    .sgpr_count:     11
    .sgpr_spill_count: 0
    .symbol:         _Z6kernelI2upxLj256ELj16ELj100EEvPKT0_PS1_.kd
    .uniform_work_group_size: 1
    .uses_dynamic_stack: false
    .vgpr_count:     38
    .vgpr_spill_count: 0
    .wavefront_size: 64
  - .args:
      - .address_space:  global
        .offset:         0
        .size:           8
        .value_kind:     global_buffer
      - .address_space:  global
        .offset:         8
        .size:           8
        .value_kind:     global_buffer
    .group_segment_fixed_size: 2048
    .kernarg_segment_align: 8
    .kernarg_segment_size: 16
    .language:       OpenCL C
    .language_version:
      - 2
      - 0
    .max_flat_workgroup_size: 256
    .name:           _Z6kernelI2upxLj256ELj32ELj100EEvPKT0_PS1_
    .private_segment_fixed_size: 0
    .sgpr_count:     11
    .sgpr_spill_count: 0
    .symbol:         _Z6kernelI2upxLj256ELj32ELj100EEvPKT0_PS1_.kd
    .uniform_work_group_size: 1
    .uses_dynamic_stack: false
    .vgpr_count:     70
    .vgpr_spill_count: 0
    .wavefront_size: 64
  - .args:
      - .address_space:  global
        .offset:         0
        .size:           8
        .value_kind:     global_buffer
      - .address_space:  global
        .offset:         8
        .size:           8
        .value_kind:     global_buffer
    .group_segment_fixed_size: 2048
    .kernarg_segment_align: 8
    .kernarg_segment_size: 16
    .language:       OpenCL C
    .language_version:
      - 2
      - 0
    .max_flat_workgroup_size: 256
    .name:           _Z6kernelI2upN15benchmark_utils11custom_typeIffEELj256ELj1ELj100EEvPKT0_PS4_
    .private_segment_fixed_size: 0
    .sgpr_count:     11
    .sgpr_spill_count: 0
    .symbol:         _Z6kernelI2upN15benchmark_utils11custom_typeIffEELj256ELj1ELj100EEvPKT0_PS4_.kd
    .uniform_work_group_size: 1
    .uses_dynamic_stack: false
    .vgpr_count:     6
    .vgpr_spill_count: 0
    .wavefront_size: 64
  - .args:
      - .address_space:  global
        .offset:         0
        .size:           8
        .value_kind:     global_buffer
      - .address_space:  global
        .offset:         8
        .size:           8
        .value_kind:     global_buffer
    .group_segment_fixed_size: 2048
    .kernarg_segment_align: 8
    .kernarg_segment_size: 16
    .language:       OpenCL C
    .language_version:
      - 2
      - 0
    .max_flat_workgroup_size: 256
    .name:           _Z6kernelI2upN15benchmark_utils11custom_typeIffEELj256ELj3ELj100EEvPKT0_PS4_
    .private_segment_fixed_size: 0
    .sgpr_count:     11
    .sgpr_spill_count: 0
    .symbol:         _Z6kernelI2upN15benchmark_utils11custom_typeIffEELj256ELj3ELj100EEvPKT0_PS4_.kd
    .uniform_work_group_size: 1
    .uses_dynamic_stack: false
    .vgpr_count:     19
    .vgpr_spill_count: 0
    .wavefront_size: 64
  - .args:
      - .address_space:  global
        .offset:         0
        .size:           8
        .value_kind:     global_buffer
      - .address_space:  global
        .offset:         8
        .size:           8
        .value_kind:     global_buffer
    .group_segment_fixed_size: 2048
    .kernarg_segment_align: 8
    .kernarg_segment_size: 16
    .language:       OpenCL C
    .language_version:
      - 2
      - 0
    .max_flat_workgroup_size: 256
    .name:           _Z6kernelI2upN15benchmark_utils11custom_typeIffEELj256ELj4ELj100EEvPKT0_PS4_
    .private_segment_fixed_size: 0
    .sgpr_count:     11
    .sgpr_spill_count: 0
    .symbol:         _Z6kernelI2upN15benchmark_utils11custom_typeIffEELj256ELj4ELj100EEvPKT0_PS4_.kd
    .uniform_work_group_size: 1
    .uses_dynamic_stack: false
    .vgpr_count:     14
    .vgpr_spill_count: 0
    .wavefront_size: 64
  - .args:
      - .address_space:  global
        .offset:         0
        .size:           8
        .value_kind:     global_buffer
      - .address_space:  global
        .offset:         8
        .size:           8
        .value_kind:     global_buffer
    .group_segment_fixed_size: 2048
    .kernarg_segment_align: 8
    .kernarg_segment_size: 16
    .language:       OpenCL C
    .language_version:
      - 2
      - 0
    .max_flat_workgroup_size: 256
    .name:           _Z6kernelI2upN15benchmark_utils11custom_typeIffEELj256ELj8ELj100EEvPKT0_PS4_
    .private_segment_fixed_size: 0
    .sgpr_count:     11
    .sgpr_spill_count: 0
    .symbol:         _Z6kernelI2upN15benchmark_utils11custom_typeIffEELj256ELj8ELj100EEvPKT0_PS4_.kd
    .uniform_work_group_size: 1
    .uses_dynamic_stack: false
    .vgpr_count:     22
    .vgpr_spill_count: 0
    .wavefront_size: 64
  - .args:
      - .address_space:  global
        .offset:         0
        .size:           8
        .value_kind:     global_buffer
      - .address_space:  global
        .offset:         8
        .size:           8
        .value_kind:     global_buffer
    .group_segment_fixed_size: 2048
    .kernarg_segment_align: 8
    .kernarg_segment_size: 16
    .language:       OpenCL C
    .language_version:
      - 2
      - 0
    .max_flat_workgroup_size: 256
    .name:           _Z6kernelI2upN15benchmark_utils11custom_typeIffEELj256ELj16ELj100EEvPKT0_PS4_
    .private_segment_fixed_size: 0
    .sgpr_count:     11
    .sgpr_spill_count: 0
    .symbol:         _Z6kernelI2upN15benchmark_utils11custom_typeIffEELj256ELj16ELj100EEvPKT0_PS4_.kd
    .uniform_work_group_size: 1
    .uses_dynamic_stack: false
    .vgpr_count:     38
    .vgpr_spill_count: 0
    .wavefront_size: 64
  - .args:
      - .address_space:  global
        .offset:         0
        .size:           8
        .value_kind:     global_buffer
      - .address_space:  global
        .offset:         8
        .size:           8
        .value_kind:     global_buffer
    .group_segment_fixed_size: 2048
    .kernarg_segment_align: 8
    .kernarg_segment_size: 16
    .language:       OpenCL C
    .language_version:
      - 2
      - 0
    .max_flat_workgroup_size: 256
    .name:           _Z6kernelI2upN15benchmark_utils11custom_typeIffEELj256ELj32ELj100EEvPKT0_PS4_
    .private_segment_fixed_size: 0
    .sgpr_count:     11
    .sgpr_spill_count: 0
    .symbol:         _Z6kernelI2upN15benchmark_utils11custom_typeIffEELj256ELj32ELj100EEvPKT0_PS4_.kd
    .uniform_work_group_size: 1
    .uses_dynamic_stack: false
    .vgpr_count:     70
    .vgpr_spill_count: 0
    .wavefront_size: 64
  - .args:
      - .address_space:  global
        .offset:         0
        .size:           8
        .value_kind:     global_buffer
      - .address_space:  global
        .offset:         8
        .size:           8
        .value_kind:     global_buffer
    .group_segment_fixed_size: 4096
    .kernarg_segment_align: 8
    .kernarg_segment_size: 16
    .language:       OpenCL C
    .language_version:
      - 2
      - 0
    .max_flat_workgroup_size: 256
    .name:           _Z6kernelI2upN15benchmark_utils11custom_typeIddEELj256ELj1ELj100EEvPKT0_PS4_
    .private_segment_fixed_size: 0
    .sgpr_count:     11
    .sgpr_spill_count: 0
    .symbol:         _Z6kernelI2upN15benchmark_utils11custom_typeIddEELj256ELj1ELj100EEvPKT0_PS4_.kd
    .uniform_work_group_size: 1
    .uses_dynamic_stack: false
    .vgpr_count:     8
    .vgpr_spill_count: 0
    .wavefront_size: 64
  - .args:
      - .address_space:  global
        .offset:         0
        .size:           8
        .value_kind:     global_buffer
      - .address_space:  global
        .offset:         8
        .size:           8
        .value_kind:     global_buffer
    .group_segment_fixed_size: 4096
    .kernarg_segment_align: 8
    .kernarg_segment_size: 16
    .language:       OpenCL C
    .language_version:
      - 2
      - 0
    .max_flat_workgroup_size: 256
    .name:           _Z6kernelI2upN15benchmark_utils11custom_typeIddEELj256ELj3ELj100EEvPKT0_PS4_
    .private_segment_fixed_size: 0
    .sgpr_count:     11
    .sgpr_spill_count: 0
    .symbol:         _Z6kernelI2upN15benchmark_utils11custom_typeIddEELj256ELj3ELj100EEvPKT0_PS4_.kd
    .uniform_work_group_size: 1
    .uses_dynamic_stack: false
    .vgpr_count:     24
    .vgpr_spill_count: 0
    .wavefront_size: 64
  - .args:
      - .address_space:  global
        .offset:         0
        .size:           8
        .value_kind:     global_buffer
      - .address_space:  global
        .offset:         8
        .size:           8
        .value_kind:     global_buffer
    .group_segment_fixed_size: 4096
    .kernarg_segment_align: 8
    .kernarg_segment_size: 16
    .language:       OpenCL C
    .language_version:
      - 2
      - 0
    .max_flat_workgroup_size: 256
    .name:           _Z6kernelI2upN15benchmark_utils11custom_typeIddEELj256ELj4ELj100EEvPKT0_PS4_
    .private_segment_fixed_size: 0
    .sgpr_count:     11
    .sgpr_spill_count: 0
    .symbol:         _Z6kernelI2upN15benchmark_utils11custom_typeIddEELj256ELj4ELj100EEvPKT0_PS4_.kd
    .uniform_work_group_size: 1
    .uses_dynamic_stack: false
    .vgpr_count:     24
    .vgpr_spill_count: 0
    .wavefront_size: 64
  - .args:
      - .address_space:  global
        .offset:         0
        .size:           8
        .value_kind:     global_buffer
      - .address_space:  global
        .offset:         8
        .size:           8
        .value_kind:     global_buffer
    .group_segment_fixed_size: 4096
    .kernarg_segment_align: 8
    .kernarg_segment_size: 16
    .language:       OpenCL C
    .language_version:
      - 2
      - 0
    .max_flat_workgroup_size: 256
    .name:           _Z6kernelI2upN15benchmark_utils11custom_typeIddEELj256ELj8ELj100EEvPKT0_PS4_
    .private_segment_fixed_size: 0
    .sgpr_count:     11
    .sgpr_spill_count: 0
    .symbol:         _Z6kernelI2upN15benchmark_utils11custom_typeIddEELj256ELj8ELj100EEvPKT0_PS4_.kd
    .uniform_work_group_size: 1
    .uses_dynamic_stack: false
    .vgpr_count:     40
    .vgpr_spill_count: 0
    .wavefront_size: 64
  - .args:
      - .address_space:  global
        .offset:         0
        .size:           8
        .value_kind:     global_buffer
      - .address_space:  global
        .offset:         8
        .size:           8
        .value_kind:     global_buffer
    .group_segment_fixed_size: 4096
    .kernarg_segment_align: 8
    .kernarg_segment_size: 16
    .language:       OpenCL C
    .language_version:
      - 2
      - 0
    .max_flat_workgroup_size: 256
    .name:           _Z6kernelI2upN15benchmark_utils11custom_typeIddEELj256ELj16ELj100EEvPKT0_PS4_
    .private_segment_fixed_size: 0
    .sgpr_count:     11
    .sgpr_spill_count: 0
    .symbol:         _Z6kernelI2upN15benchmark_utils11custom_typeIddEELj256ELj16ELj100EEvPKT0_PS4_.kd
    .uniform_work_group_size: 1
    .uses_dynamic_stack: false
    .vgpr_count:     72
    .vgpr_spill_count: 0
    .wavefront_size: 64
  - .args:
      - .address_space:  global
        .offset:         0
        .size:           8
        .value_kind:     global_buffer
      - .address_space:  global
        .offset:         8
        .size:           8
        .value_kind:     global_buffer
    .group_segment_fixed_size: 4096
    .kernarg_segment_align: 8
    .kernarg_segment_size: 16
    .language:       OpenCL C
    .language_version:
      - 2
      - 0
    .max_flat_workgroup_size: 256
    .name:           _Z6kernelI2upN15benchmark_utils11custom_typeIddEELj256ELj32ELj100EEvPKT0_PS4_
    .private_segment_fixed_size: 0
    .sgpr_count:     11
    .sgpr_spill_count: 0
    .symbol:         _Z6kernelI2upN15benchmark_utils11custom_typeIddEELj256ELj32ELj100EEvPKT0_PS4_.kd
    .uniform_work_group_size: 1
    .uses_dynamic_stack: false
    .vgpr_count:     136
    .vgpr_spill_count: 0
    .wavefront_size: 64
  - .args:
      - .address_space:  global
        .offset:         0
        .size:           8
        .value_kind:     global_buffer
      - .address_space:  global
        .offset:         8
        .size:           8
        .value_kind:     global_buffer
    .group_segment_fixed_size: 1024
    .kernarg_segment_align: 8
    .kernarg_segment_size: 16
    .language:       OpenCL C
    .language_version:
      - 2
      - 0
    .max_flat_workgroup_size: 256
    .name:           _Z6kernelI4downiLj256ELj1ELj100EEvPKT0_PS1_
    .private_segment_fixed_size: 0
    .sgpr_count:     11
    .sgpr_spill_count: 0
    .symbol:         _Z6kernelI4downiLj256ELj1ELj100EEvPKT0_PS1_.kd
    .uniform_work_group_size: 1
    .uses_dynamic_stack: false
    .vgpr_count:     5
    .vgpr_spill_count: 0
    .wavefront_size: 64
  - .args:
      - .address_space:  global
        .offset:         0
        .size:           8
        .value_kind:     global_buffer
      - .address_space:  global
        .offset:         8
        .size:           8
        .value_kind:     global_buffer
    .group_segment_fixed_size: 1024
    .kernarg_segment_align: 8
    .kernarg_segment_size: 16
    .language:       OpenCL C
    .language_version:
      - 2
      - 0
    .max_flat_workgroup_size: 256
    .name:           _Z6kernelI4downiLj256ELj3ELj100EEvPKT0_PS1_
    .private_segment_fixed_size: 0
    .sgpr_count:     11
    .sgpr_spill_count: 0
    .symbol:         _Z6kernelI4downiLj256ELj3ELj100EEvPKT0_PS1_.kd
    .uniform_work_group_size: 1
    .uses_dynamic_stack: false
    .vgpr_count:     17
    .vgpr_spill_count: 0
    .wavefront_size: 64
  - .args:
      - .address_space:  global
        .offset:         0
        .size:           8
        .value_kind:     global_buffer
      - .address_space:  global
        .offset:         8
        .size:           8
        .value_kind:     global_buffer
    .group_segment_fixed_size: 1024
    .kernarg_segment_align: 8
    .kernarg_segment_size: 16
    .language:       OpenCL C
    .language_version:
      - 2
      - 0
    .max_flat_workgroup_size: 256
    .name:           _Z6kernelI4downiLj256ELj4ELj100EEvPKT0_PS1_
    .private_segment_fixed_size: 0
    .sgpr_count:     11
    .sgpr_spill_count: 0
    .symbol:         _Z6kernelI4downiLj256ELj4ELj100EEvPKT0_PS1_.kd
    .uniform_work_group_size: 1
    .uses_dynamic_stack: false
    .vgpr_count:     9
    .vgpr_spill_count: 0
    .wavefront_size: 64
  - .args:
      - .address_space:  global
        .offset:         0
        .size:           8
        .value_kind:     global_buffer
      - .address_space:  global
        .offset:         8
        .size:           8
        .value_kind:     global_buffer
    .group_segment_fixed_size: 1024
    .kernarg_segment_align: 8
    .kernarg_segment_size: 16
    .language:       OpenCL C
    .language_version:
      - 2
      - 0
    .max_flat_workgroup_size: 256
    .name:           _Z6kernelI4downiLj256ELj8ELj100EEvPKT0_PS1_
    .private_segment_fixed_size: 0
    .sgpr_count:     11
    .sgpr_spill_count: 0
    .symbol:         _Z6kernelI4downiLj256ELj8ELj100EEvPKT0_PS1_.kd
    .uniform_work_group_size: 1
    .uses_dynamic_stack: false
    .vgpr_count:     14
    .vgpr_spill_count: 0
    .wavefront_size: 64
  - .args:
      - .address_space:  global
        .offset:         0
        .size:           8
        .value_kind:     global_buffer
      - .address_space:  global
        .offset:         8
        .size:           8
        .value_kind:     global_buffer
    .group_segment_fixed_size: 1024
    .kernarg_segment_align: 8
    .kernarg_segment_size: 16
    .language:       OpenCL C
    .language_version:
      - 2
      - 0
    .max_flat_workgroup_size: 256
    .name:           _Z6kernelI4downiLj256ELj16ELj100EEvPKT0_PS1_
    .private_segment_fixed_size: 0
    .sgpr_count:     11
    .sgpr_spill_count: 0
    .symbol:         _Z6kernelI4downiLj256ELj16ELj100EEvPKT0_PS1_.kd
    .uniform_work_group_size: 1
    .uses_dynamic_stack: false
    .vgpr_count:     23
    .vgpr_spill_count: 0
    .wavefront_size: 64
  - .args:
      - .address_space:  global
        .offset:         0
        .size:           8
        .value_kind:     global_buffer
      - .address_space:  global
        .offset:         8
        .size:           8
        .value_kind:     global_buffer
    .group_segment_fixed_size: 1024
    .kernarg_segment_align: 8
    .kernarg_segment_size: 16
    .language:       OpenCL C
    .language_version:
      - 2
      - 0
    .max_flat_workgroup_size: 256
    .name:           _Z6kernelI4downiLj256ELj32ELj100EEvPKT0_PS1_
    .private_segment_fixed_size: 0
    .sgpr_count:     11
    .sgpr_spill_count: 0
    .symbol:         _Z6kernelI4downiLj256ELj32ELj100EEvPKT0_PS1_.kd
    .uniform_work_group_size: 1
    .uses_dynamic_stack: false
    .vgpr_count:     39
    .vgpr_spill_count: 0
    .wavefront_size: 64
  - .args:
      - .address_space:  global
        .offset:         0
        .size:           8
        .value_kind:     global_buffer
      - .address_space:  global
        .offset:         8
        .size:           8
        .value_kind:     global_buffer
    .group_segment_fixed_size: 1024
    .kernarg_segment_align: 8
    .kernarg_segment_size: 16
    .language:       OpenCL C
    .language_version:
      - 2
      - 0
    .max_flat_workgroup_size: 256
    .name:           _Z6kernelI4downfLj256ELj1ELj100EEvPKT0_PS1_
    .private_segment_fixed_size: 0
    .sgpr_count:     11
    .sgpr_spill_count: 0
    .symbol:         _Z6kernelI4downfLj256ELj1ELj100EEvPKT0_PS1_.kd
    .uniform_work_group_size: 1
    .uses_dynamic_stack: false
    .vgpr_count:     5
    .vgpr_spill_count: 0
    .wavefront_size: 64
  - .args:
      - .address_space:  global
        .offset:         0
        .size:           8
        .value_kind:     global_buffer
      - .address_space:  global
        .offset:         8
        .size:           8
        .value_kind:     global_buffer
    .group_segment_fixed_size: 1024
    .kernarg_segment_align: 8
    .kernarg_segment_size: 16
    .language:       OpenCL C
    .language_version:
      - 2
      - 0
    .max_flat_workgroup_size: 256
    .name:           _Z6kernelI4downfLj256ELj3ELj100EEvPKT0_PS1_
    .private_segment_fixed_size: 0
    .sgpr_count:     11
    .sgpr_spill_count: 0
    .symbol:         _Z6kernelI4downfLj256ELj3ELj100EEvPKT0_PS1_.kd
    .uniform_work_group_size: 1
    .uses_dynamic_stack: false
    .vgpr_count:     17
    .vgpr_spill_count: 0
    .wavefront_size: 64
  - .args:
      - .address_space:  global
        .offset:         0
        .size:           8
        .value_kind:     global_buffer
      - .address_space:  global
        .offset:         8
        .size:           8
        .value_kind:     global_buffer
    .group_segment_fixed_size: 1024
    .kernarg_segment_align: 8
    .kernarg_segment_size: 16
    .language:       OpenCL C
    .language_version:
      - 2
      - 0
    .max_flat_workgroup_size: 256
    .name:           _Z6kernelI4downfLj256ELj4ELj100EEvPKT0_PS1_
    .private_segment_fixed_size: 0
    .sgpr_count:     11
    .sgpr_spill_count: 0
    .symbol:         _Z6kernelI4downfLj256ELj4ELj100EEvPKT0_PS1_.kd
    .uniform_work_group_size: 1
    .uses_dynamic_stack: false
    .vgpr_count:     9
    .vgpr_spill_count: 0
    .wavefront_size: 64
  - .args:
      - .address_space:  global
        .offset:         0
        .size:           8
        .value_kind:     global_buffer
      - .address_space:  global
        .offset:         8
        .size:           8
        .value_kind:     global_buffer
    .group_segment_fixed_size: 1024
    .kernarg_segment_align: 8
    .kernarg_segment_size: 16
    .language:       OpenCL C
    .language_version:
      - 2
      - 0
    .max_flat_workgroup_size: 256
    .name:           _Z6kernelI4downfLj256ELj8ELj100EEvPKT0_PS1_
    .private_segment_fixed_size: 0
    .sgpr_count:     11
    .sgpr_spill_count: 0
    .symbol:         _Z6kernelI4downfLj256ELj8ELj100EEvPKT0_PS1_.kd
    .uniform_work_group_size: 1
    .uses_dynamic_stack: false
    .vgpr_count:     14
    .vgpr_spill_count: 0
    .wavefront_size: 64
  - .args:
      - .address_space:  global
        .offset:         0
        .size:           8
        .value_kind:     global_buffer
      - .address_space:  global
        .offset:         8
        .size:           8
        .value_kind:     global_buffer
    .group_segment_fixed_size: 1024
    .kernarg_segment_align: 8
    .kernarg_segment_size: 16
    .language:       OpenCL C
    .language_version:
      - 2
      - 0
    .max_flat_workgroup_size: 256
    .name:           _Z6kernelI4downfLj256ELj16ELj100EEvPKT0_PS1_
    .private_segment_fixed_size: 0
    .sgpr_count:     11
    .sgpr_spill_count: 0
    .symbol:         _Z6kernelI4downfLj256ELj16ELj100EEvPKT0_PS1_.kd
    .uniform_work_group_size: 1
    .uses_dynamic_stack: false
    .vgpr_count:     23
    .vgpr_spill_count: 0
    .wavefront_size: 64
  - .args:
      - .address_space:  global
        .offset:         0
        .size:           8
        .value_kind:     global_buffer
      - .address_space:  global
        .offset:         8
        .size:           8
        .value_kind:     global_buffer
    .group_segment_fixed_size: 1024
    .kernarg_segment_align: 8
    .kernarg_segment_size: 16
    .language:       OpenCL C
    .language_version:
      - 2
      - 0
    .max_flat_workgroup_size: 256
    .name:           _Z6kernelI4downfLj256ELj32ELj100EEvPKT0_PS1_
    .private_segment_fixed_size: 0
    .sgpr_count:     11
    .sgpr_spill_count: 0
    .symbol:         _Z6kernelI4downfLj256ELj32ELj100EEvPKT0_PS1_.kd
    .uniform_work_group_size: 1
    .uses_dynamic_stack: false
    .vgpr_count:     39
    .vgpr_spill_count: 0
    .wavefront_size: 64
  - .args:
      - .address_space:  global
        .offset:         0
        .size:           8
        .value_kind:     global_buffer
      - .address_space:  global
        .offset:         8
        .size:           8
        .value_kind:     global_buffer
    .group_segment_fixed_size: 2048
    .kernarg_segment_align: 8
    .kernarg_segment_size: 16
    .language:       OpenCL C
    .language_version:
      - 2
      - 0
    .max_flat_workgroup_size: 256
    .name:           _Z6kernelI4downdLj256ELj1ELj100EEvPKT0_PS1_
    .private_segment_fixed_size: 0
    .sgpr_count:     11
    .sgpr_spill_count: 0
    .symbol:         _Z6kernelI4downdLj256ELj1ELj100EEvPKT0_PS1_.kd
    .uniform_work_group_size: 1
    .uses_dynamic_stack: false
    .vgpr_count:     6
    .vgpr_spill_count: 0
    .wavefront_size: 64
  - .args:
      - .address_space:  global
        .offset:         0
        .size:           8
        .value_kind:     global_buffer
      - .address_space:  global
        .offset:         8
        .size:           8
        .value_kind:     global_buffer
    .group_segment_fixed_size: 2048
    .kernarg_segment_align: 8
    .kernarg_segment_size: 16
    .language:       OpenCL C
    .language_version:
      - 2
      - 0
    .max_flat_workgroup_size: 256
    .name:           _Z6kernelI4downdLj256ELj3ELj100EEvPKT0_PS1_
    .private_segment_fixed_size: 0
    .sgpr_count:     11
    .sgpr_spill_count: 0
    .symbol:         _Z6kernelI4downdLj256ELj3ELj100EEvPKT0_PS1_.kd
    .uniform_work_group_size: 1
    .uses_dynamic_stack: false
    .vgpr_count:     19
    .vgpr_spill_count: 0
    .wavefront_size: 64
  - .args:
      - .address_space:  global
        .offset:         0
        .size:           8
        .value_kind:     global_buffer
      - .address_space:  global
        .offset:         8
        .size:           8
        .value_kind:     global_buffer
    .group_segment_fixed_size: 2048
    .kernarg_segment_align: 8
    .kernarg_segment_size: 16
    .language:       OpenCL C
    .language_version:
      - 2
      - 0
    .max_flat_workgroup_size: 256
    .name:           _Z6kernelI4downdLj256ELj4ELj100EEvPKT0_PS1_
    .private_segment_fixed_size: 0
    .sgpr_count:     11
    .sgpr_spill_count: 0
    .symbol:         _Z6kernelI4downdLj256ELj4ELj100EEvPKT0_PS1_.kd
    .uniform_work_group_size: 1
    .uses_dynamic_stack: false
    .vgpr_count:     14
    .vgpr_spill_count: 0
    .wavefront_size: 64
  - .args:
      - .address_space:  global
        .offset:         0
        .size:           8
        .value_kind:     global_buffer
      - .address_space:  global
        .offset:         8
        .size:           8
        .value_kind:     global_buffer
    .group_segment_fixed_size: 2048
    .kernarg_segment_align: 8
    .kernarg_segment_size: 16
    .language:       OpenCL C
    .language_version:
      - 2
      - 0
    .max_flat_workgroup_size: 256
    .name:           _Z6kernelI4downdLj256ELj8ELj100EEvPKT0_PS1_
    .private_segment_fixed_size: 0
    .sgpr_count:     11
    .sgpr_spill_count: 0
    .symbol:         _Z6kernelI4downdLj256ELj8ELj100EEvPKT0_PS1_.kd
    .uniform_work_group_size: 1
    .uses_dynamic_stack: false
    .vgpr_count:     23
    .vgpr_spill_count: 0
    .wavefront_size: 64
  - .args:
      - .address_space:  global
        .offset:         0
        .size:           8
        .value_kind:     global_buffer
      - .address_space:  global
        .offset:         8
        .size:           8
        .value_kind:     global_buffer
    .group_segment_fixed_size: 2048
    .kernarg_segment_align: 8
    .kernarg_segment_size: 16
    .language:       OpenCL C
    .language_version:
      - 2
      - 0
    .max_flat_workgroup_size: 256
    .name:           _Z6kernelI4downdLj256ELj16ELj100EEvPKT0_PS1_
    .private_segment_fixed_size: 0
    .sgpr_count:     11
    .sgpr_spill_count: 0
    .symbol:         _Z6kernelI4downdLj256ELj16ELj100EEvPKT0_PS1_.kd
    .uniform_work_group_size: 1
    .uses_dynamic_stack: false
    .vgpr_count:     39
    .vgpr_spill_count: 0
    .wavefront_size: 64
  - .args:
      - .address_space:  global
        .offset:         0
        .size:           8
        .value_kind:     global_buffer
      - .address_space:  global
        .offset:         8
        .size:           8
        .value_kind:     global_buffer
    .group_segment_fixed_size: 2048
    .kernarg_segment_align: 8
    .kernarg_segment_size: 16
    .language:       OpenCL C
    .language_version:
      - 2
      - 0
    .max_flat_workgroup_size: 256
    .name:           _Z6kernelI4downdLj256ELj32ELj100EEvPKT0_PS1_
    .private_segment_fixed_size: 0
    .sgpr_count:     11
    .sgpr_spill_count: 0
    .symbol:         _Z6kernelI4downdLj256ELj32ELj100EEvPKT0_PS1_.kd
    .uniform_work_group_size: 1
    .uses_dynamic_stack: false
    .vgpr_count:     70
    .vgpr_spill_count: 0
    .wavefront_size: 64
  - .args:
      - .address_space:  global
        .offset:         0
        .size:           8
        .value_kind:     global_buffer
      - .address_space:  global
        .offset:         8
        .size:           8
        .value_kind:     global_buffer
    .group_segment_fixed_size: 256
    .kernarg_segment_align: 8
    .kernarg_segment_size: 16
    .language:       OpenCL C
    .language_version:
      - 2
      - 0
    .max_flat_workgroup_size: 256
    .name:           _Z6kernelI4downaLj256ELj1ELj100EEvPKT0_PS1_
    .private_segment_fixed_size: 0
    .sgpr_count:     11
    .sgpr_spill_count: 0
    .symbol:         _Z6kernelI4downaLj256ELj1ELj100EEvPKT0_PS1_.kd
    .uniform_work_group_size: 1
    .uses_dynamic_stack: false
    .vgpr_count:     4
    .vgpr_spill_count: 0
    .wavefront_size: 64
  - .args:
      - .address_space:  global
        .offset:         0
        .size:           8
        .value_kind:     global_buffer
      - .address_space:  global
        .offset:         8
        .size:           8
        .value_kind:     global_buffer
    .group_segment_fixed_size: 256
    .kernarg_segment_align: 8
    .kernarg_segment_size: 16
    .language:       OpenCL C
    .language_version:
      - 2
      - 0
    .max_flat_workgroup_size: 256
    .name:           _Z6kernelI4downaLj256ELj3ELj100EEvPKT0_PS1_
    .private_segment_fixed_size: 0
    .sgpr_count:     11
    .sgpr_spill_count: 0
    .symbol:         _Z6kernelI4downaLj256ELj3ELj100EEvPKT0_PS1_.kd
    .uniform_work_group_size: 1
    .uses_dynamic_stack: false
    .vgpr_count:     8
    .vgpr_spill_count: 0
    .wavefront_size: 64
  - .args:
      - .address_space:  global
        .offset:         0
        .size:           8
        .value_kind:     global_buffer
      - .address_space:  global
        .offset:         8
        .size:           8
        .value_kind:     global_buffer
    .group_segment_fixed_size: 256
    .kernarg_segment_align: 8
    .kernarg_segment_size: 16
    .language:       OpenCL C
    .language_version:
      - 2
      - 0
    .max_flat_workgroup_size: 256
    .name:           _Z6kernelI4downaLj256ELj4ELj100EEvPKT0_PS1_
    .private_segment_fixed_size: 0
    .sgpr_count:     11
    .sgpr_spill_count: 0
    .symbol:         _Z6kernelI4downaLj256ELj4ELj100EEvPKT0_PS1_.kd
    .uniform_work_group_size: 1
    .uses_dynamic_stack: false
    .vgpr_count:     4
    .vgpr_spill_count: 0
    .wavefront_size: 64
  - .args:
      - .address_space:  global
        .offset:         0
        .size:           8
        .value_kind:     global_buffer
      - .address_space:  global
        .offset:         8
        .size:           8
        .value_kind:     global_buffer
    .group_segment_fixed_size: 256
    .kernarg_segment_align: 8
    .kernarg_segment_size: 16
    .language:       OpenCL C
    .language_version:
      - 2
      - 0
    .max_flat_workgroup_size: 256
    .name:           _Z6kernelI4downaLj256ELj8ELj100EEvPKT0_PS1_
    .private_segment_fixed_size: 0
    .sgpr_count:     13
    .sgpr_spill_count: 0
    .symbol:         _Z6kernelI4downaLj256ELj8ELj100EEvPKT0_PS1_.kd
    .uniform_work_group_size: 1
    .uses_dynamic_stack: false
    .vgpr_count:     5
    .vgpr_spill_count: 0
    .wavefront_size: 64
  - .args:
      - .address_space:  global
        .offset:         0
        .size:           8
        .value_kind:     global_buffer
      - .address_space:  global
        .offset:         8
        .size:           8
        .value_kind:     global_buffer
    .group_segment_fixed_size: 256
    .kernarg_segment_align: 8
    .kernarg_segment_size: 16
    .language:       OpenCL C
    .language_version:
      - 2
      - 0
    .max_flat_workgroup_size: 256
    .name:           _Z6kernelI4downaLj256ELj16ELj100EEvPKT0_PS1_
    .private_segment_fixed_size: 0
    .sgpr_count:     12
    .sgpr_spill_count: 0
    .symbol:         _Z6kernelI4downaLj256ELj16ELj100EEvPKT0_PS1_.kd
    .uniform_work_group_size: 1
    .uses_dynamic_stack: false
    .vgpr_count:     8
    .vgpr_spill_count: 0
    .wavefront_size: 64
  - .args:
      - .address_space:  global
        .offset:         0
        .size:           8
        .value_kind:     global_buffer
      - .address_space:  global
        .offset:         8
        .size:           8
        .value_kind:     global_buffer
    .group_segment_fixed_size: 256
    .kernarg_segment_align: 8
    .kernarg_segment_size: 16
    .language:       OpenCL C
    .language_version:
      - 2
      - 0
    .max_flat_workgroup_size: 256
    .name:           _Z6kernelI4downaLj256ELj32ELj100EEvPKT0_PS1_
    .private_segment_fixed_size: 0
    .sgpr_count:     12
    .sgpr_spill_count: 0
    .symbol:         _Z6kernelI4downaLj256ELj32ELj100EEvPKT0_PS1_.kd
    .uniform_work_group_size: 1
    .uses_dynamic_stack: false
    .vgpr_count:     16
    .vgpr_spill_count: 0
    .wavefront_size: 64
  - .args:
      - .address_space:  global
        .offset:         0
        .size:           8
        .value_kind:     global_buffer
      - .address_space:  global
        .offset:         8
        .size:           8
        .value_kind:     global_buffer
    .group_segment_fixed_size: 2048
    .kernarg_segment_align: 8
    .kernarg_segment_size: 16
    .language:       OpenCL C
    .language_version:
      - 2
      - 0
    .max_flat_workgroup_size: 256
    .name:           _Z6kernelI4downxLj256ELj1ELj100EEvPKT0_PS1_
    .private_segment_fixed_size: 0
    .sgpr_count:     11
    .sgpr_spill_count: 0
    .symbol:         _Z6kernelI4downxLj256ELj1ELj100EEvPKT0_PS1_.kd
    .uniform_work_group_size: 1
    .uses_dynamic_stack: false
    .vgpr_count:     6
    .vgpr_spill_count: 0
    .wavefront_size: 64
  - .args:
      - .address_space:  global
        .offset:         0
        .size:           8
        .value_kind:     global_buffer
      - .address_space:  global
        .offset:         8
        .size:           8
        .value_kind:     global_buffer
    .group_segment_fixed_size: 2048
    .kernarg_segment_align: 8
    .kernarg_segment_size: 16
    .language:       OpenCL C
    .language_version:
      - 2
      - 0
    .max_flat_workgroup_size: 256
    .name:           _Z6kernelI4downxLj256ELj3ELj100EEvPKT0_PS1_
    .private_segment_fixed_size: 0
    .sgpr_count:     11
    .sgpr_spill_count: 0
    .symbol:         _Z6kernelI4downxLj256ELj3ELj100EEvPKT0_PS1_.kd
    .uniform_work_group_size: 1
    .uses_dynamic_stack: false
    .vgpr_count:     19
    .vgpr_spill_count: 0
    .wavefront_size: 64
  - .args:
      - .address_space:  global
        .offset:         0
        .size:           8
        .value_kind:     global_buffer
      - .address_space:  global
        .offset:         8
        .size:           8
        .value_kind:     global_buffer
    .group_segment_fixed_size: 2048
    .kernarg_segment_align: 8
    .kernarg_segment_size: 16
    .language:       OpenCL C
    .language_version:
      - 2
      - 0
    .max_flat_workgroup_size: 256
    .name:           _Z6kernelI4downxLj256ELj4ELj100EEvPKT0_PS1_
    .private_segment_fixed_size: 0
    .sgpr_count:     11
    .sgpr_spill_count: 0
    .symbol:         _Z6kernelI4downxLj256ELj4ELj100EEvPKT0_PS1_.kd
    .uniform_work_group_size: 1
    .uses_dynamic_stack: false
    .vgpr_count:     14
    .vgpr_spill_count: 0
    .wavefront_size: 64
  - .args:
      - .address_space:  global
        .offset:         0
        .size:           8
        .value_kind:     global_buffer
      - .address_space:  global
        .offset:         8
        .size:           8
        .value_kind:     global_buffer
    .group_segment_fixed_size: 2048
    .kernarg_segment_align: 8
    .kernarg_segment_size: 16
    .language:       OpenCL C
    .language_version:
      - 2
      - 0
    .max_flat_workgroup_size: 256
    .name:           _Z6kernelI4downxLj256ELj8ELj100EEvPKT0_PS1_
    .private_segment_fixed_size: 0
    .sgpr_count:     11
    .sgpr_spill_count: 0
    .symbol:         _Z6kernelI4downxLj256ELj8ELj100EEvPKT0_PS1_.kd
    .uniform_work_group_size: 1
    .uses_dynamic_stack: false
    .vgpr_count:     23
    .vgpr_spill_count: 0
    .wavefront_size: 64
  - .args:
      - .address_space:  global
        .offset:         0
        .size:           8
        .value_kind:     global_buffer
      - .address_space:  global
        .offset:         8
        .size:           8
        .value_kind:     global_buffer
    .group_segment_fixed_size: 2048
    .kernarg_segment_align: 8
    .kernarg_segment_size: 16
    .language:       OpenCL C
    .language_version:
      - 2
      - 0
    .max_flat_workgroup_size: 256
    .name:           _Z6kernelI4downxLj256ELj16ELj100EEvPKT0_PS1_
    .private_segment_fixed_size: 0
    .sgpr_count:     11
    .sgpr_spill_count: 0
    .symbol:         _Z6kernelI4downxLj256ELj16ELj100EEvPKT0_PS1_.kd
    .uniform_work_group_size: 1
    .uses_dynamic_stack: false
    .vgpr_count:     39
    .vgpr_spill_count: 0
    .wavefront_size: 64
  - .args:
      - .address_space:  global
        .offset:         0
        .size:           8
        .value_kind:     global_buffer
      - .address_space:  global
        .offset:         8
        .size:           8
        .value_kind:     global_buffer
    .group_segment_fixed_size: 2048
    .kernarg_segment_align: 8
    .kernarg_segment_size: 16
    .language:       OpenCL C
    .language_version:
      - 2
      - 0
    .max_flat_workgroup_size: 256
    .name:           _Z6kernelI4downxLj256ELj32ELj100EEvPKT0_PS1_
    .private_segment_fixed_size: 0
    .sgpr_count:     11
    .sgpr_spill_count: 0
    .symbol:         _Z6kernelI4downxLj256ELj32ELj100EEvPKT0_PS1_.kd
    .uniform_work_group_size: 1
    .uses_dynamic_stack: false
    .vgpr_count:     70
    .vgpr_spill_count: 0
    .wavefront_size: 64
  - .args:
      - .address_space:  global
        .offset:         0
        .size:           8
        .value_kind:     global_buffer
      - .address_space:  global
        .offset:         8
        .size:           8
        .value_kind:     global_buffer
    .group_segment_fixed_size: 2048
    .kernarg_segment_align: 8
    .kernarg_segment_size: 16
    .language:       OpenCL C
    .language_version:
      - 2
      - 0
    .max_flat_workgroup_size: 256
    .name:           _Z6kernelI4downN15benchmark_utils11custom_typeIffEELj256ELj1ELj100EEvPKT0_PS4_
    .private_segment_fixed_size: 0
    .sgpr_count:     11
    .sgpr_spill_count: 0
    .symbol:         _Z6kernelI4downN15benchmark_utils11custom_typeIffEELj256ELj1ELj100EEvPKT0_PS4_.kd
    .uniform_work_group_size: 1
    .uses_dynamic_stack: false
    .vgpr_count:     6
    .vgpr_spill_count: 0
    .wavefront_size: 64
  - .args:
      - .address_space:  global
        .offset:         0
        .size:           8
        .value_kind:     global_buffer
      - .address_space:  global
        .offset:         8
        .size:           8
        .value_kind:     global_buffer
    .group_segment_fixed_size: 2048
    .kernarg_segment_align: 8
    .kernarg_segment_size: 16
    .language:       OpenCL C
    .language_version:
      - 2
      - 0
    .max_flat_workgroup_size: 256
    .name:           _Z6kernelI4downN15benchmark_utils11custom_typeIffEELj256ELj3ELj100EEvPKT0_PS4_
    .private_segment_fixed_size: 0
    .sgpr_count:     11
    .sgpr_spill_count: 0
    .symbol:         _Z6kernelI4downN15benchmark_utils11custom_typeIffEELj256ELj3ELj100EEvPKT0_PS4_.kd
    .uniform_work_group_size: 1
    .uses_dynamic_stack: false
    .vgpr_count:     19
    .vgpr_spill_count: 0
    .wavefront_size: 64
  - .args:
      - .address_space:  global
        .offset:         0
        .size:           8
        .value_kind:     global_buffer
      - .address_space:  global
        .offset:         8
        .size:           8
        .value_kind:     global_buffer
    .group_segment_fixed_size: 2048
    .kernarg_segment_align: 8
    .kernarg_segment_size: 16
    .language:       OpenCL C
    .language_version:
      - 2
      - 0
    .max_flat_workgroup_size: 256
    .name:           _Z6kernelI4downN15benchmark_utils11custom_typeIffEELj256ELj4ELj100EEvPKT0_PS4_
    .private_segment_fixed_size: 0
    .sgpr_count:     11
    .sgpr_spill_count: 0
    .symbol:         _Z6kernelI4downN15benchmark_utils11custom_typeIffEELj256ELj4ELj100EEvPKT0_PS4_.kd
    .uniform_work_group_size: 1
    .uses_dynamic_stack: false
    .vgpr_count:     15
    .vgpr_spill_count: 0
    .wavefront_size: 64
  - .args:
      - .address_space:  global
        .offset:         0
        .size:           8
        .value_kind:     global_buffer
      - .address_space:  global
        .offset:         8
        .size:           8
        .value_kind:     global_buffer
    .group_segment_fixed_size: 2048
    .kernarg_segment_align: 8
    .kernarg_segment_size: 16
    .language:       OpenCL C
    .language_version:
      - 2
      - 0
    .max_flat_workgroup_size: 256
    .name:           _Z6kernelI4downN15benchmark_utils11custom_typeIffEELj256ELj8ELj100EEvPKT0_PS4_
    .private_segment_fixed_size: 0
    .sgpr_count:     11
    .sgpr_spill_count: 0
    .symbol:         _Z6kernelI4downN15benchmark_utils11custom_typeIffEELj256ELj8ELj100EEvPKT0_PS4_.kd
    .uniform_work_group_size: 1
    .uses_dynamic_stack: false
    .vgpr_count:     22
    .vgpr_spill_count: 0
    .wavefront_size: 64
  - .args:
      - .address_space:  global
        .offset:         0
        .size:           8
        .value_kind:     global_buffer
      - .address_space:  global
        .offset:         8
        .size:           8
        .value_kind:     global_buffer
    .group_segment_fixed_size: 2048
    .kernarg_segment_align: 8
    .kernarg_segment_size: 16
    .language:       OpenCL C
    .language_version:
      - 2
      - 0
    .max_flat_workgroup_size: 256
    .name:           _Z6kernelI4downN15benchmark_utils11custom_typeIffEELj256ELj16ELj100EEvPKT0_PS4_
    .private_segment_fixed_size: 0
    .sgpr_count:     11
    .sgpr_spill_count: 0
    .symbol:         _Z6kernelI4downN15benchmark_utils11custom_typeIffEELj256ELj16ELj100EEvPKT0_PS4_.kd
    .uniform_work_group_size: 1
    .uses_dynamic_stack: false
    .vgpr_count:     37
    .vgpr_spill_count: 0
    .wavefront_size: 64
  - .args:
      - .address_space:  global
        .offset:         0
        .size:           8
        .value_kind:     global_buffer
      - .address_space:  global
        .offset:         8
        .size:           8
        .value_kind:     global_buffer
    .group_segment_fixed_size: 2048
    .kernarg_segment_align: 8
    .kernarg_segment_size: 16
    .language:       OpenCL C
    .language_version:
      - 2
      - 0
    .max_flat_workgroup_size: 256
    .name:           _Z6kernelI4downN15benchmark_utils11custom_typeIffEELj256ELj32ELj100EEvPKT0_PS4_
    .private_segment_fixed_size: 0
    .sgpr_count:     11
    .sgpr_spill_count: 0
    .symbol:         _Z6kernelI4downN15benchmark_utils11custom_typeIffEELj256ELj32ELj100EEvPKT0_PS4_.kd
    .uniform_work_group_size: 1
    .uses_dynamic_stack: false
    .vgpr_count:     71
    .vgpr_spill_count: 0
    .wavefront_size: 64
  - .args:
      - .address_space:  global
        .offset:         0
        .size:           8
        .value_kind:     global_buffer
      - .address_space:  global
        .offset:         8
        .size:           8
        .value_kind:     global_buffer
    .group_segment_fixed_size: 4096
    .kernarg_segment_align: 8
    .kernarg_segment_size: 16
    .language:       OpenCL C
    .language_version:
      - 2
      - 0
    .max_flat_workgroup_size: 256
    .name:           _Z6kernelI4downN15benchmark_utils11custom_typeIddEELj256ELj1ELj100EEvPKT0_PS4_
    .private_segment_fixed_size: 0
    .sgpr_count:     11
    .sgpr_spill_count: 0
    .symbol:         _Z6kernelI4downN15benchmark_utils11custom_typeIddEELj256ELj1ELj100EEvPKT0_PS4_.kd
    .uniform_work_group_size: 1
    .uses_dynamic_stack: false
    .vgpr_count:     8
    .vgpr_spill_count: 0
    .wavefront_size: 64
  - .args:
      - .address_space:  global
        .offset:         0
        .size:           8
        .value_kind:     global_buffer
      - .address_space:  global
        .offset:         8
        .size:           8
        .value_kind:     global_buffer
    .group_segment_fixed_size: 4096
    .kernarg_segment_align: 8
    .kernarg_segment_size: 16
    .language:       OpenCL C
    .language_version:
      - 2
      - 0
    .max_flat_workgroup_size: 256
    .name:           _Z6kernelI4downN15benchmark_utils11custom_typeIddEELj256ELj3ELj100EEvPKT0_PS4_
    .private_segment_fixed_size: 0
    .sgpr_count:     11
    .sgpr_spill_count: 0
    .symbol:         _Z6kernelI4downN15benchmark_utils11custom_typeIddEELj256ELj3ELj100EEvPKT0_PS4_.kd
    .uniform_work_group_size: 1
    .uses_dynamic_stack: false
    .vgpr_count:     24
    .vgpr_spill_count: 0
    .wavefront_size: 64
  - .args:
      - .address_space:  global
        .offset:         0
        .size:           8
        .value_kind:     global_buffer
      - .address_space:  global
        .offset:         8
        .size:           8
        .value_kind:     global_buffer
    .group_segment_fixed_size: 4096
    .kernarg_segment_align: 8
    .kernarg_segment_size: 16
    .language:       OpenCL C
    .language_version:
      - 2
      - 0
    .max_flat_workgroup_size: 256
    .name:           _Z6kernelI4downN15benchmark_utils11custom_typeIddEELj256ELj4ELj100EEvPKT0_PS4_
    .private_segment_fixed_size: 0
    .sgpr_count:     11
    .sgpr_spill_count: 0
    .symbol:         _Z6kernelI4downN15benchmark_utils11custom_typeIddEELj256ELj4ELj100EEvPKT0_PS4_.kd
    .uniform_work_group_size: 1
    .uses_dynamic_stack: false
    .vgpr_count:     24
    .vgpr_spill_count: 0
    .wavefront_size: 64
  - .args:
      - .address_space:  global
        .offset:         0
        .size:           8
        .value_kind:     global_buffer
      - .address_space:  global
        .offset:         8
        .size:           8
        .value_kind:     global_buffer
    .group_segment_fixed_size: 4096
    .kernarg_segment_align: 8
    .kernarg_segment_size: 16
    .language:       OpenCL C
    .language_version:
      - 2
      - 0
    .max_flat_workgroup_size: 256
    .name:           _Z6kernelI4downN15benchmark_utils11custom_typeIddEELj256ELj8ELj100EEvPKT0_PS4_
    .private_segment_fixed_size: 0
    .sgpr_count:     11
    .sgpr_spill_count: 0
    .symbol:         _Z6kernelI4downN15benchmark_utils11custom_typeIddEELj256ELj8ELj100EEvPKT0_PS4_.kd
    .uniform_work_group_size: 1
    .uses_dynamic_stack: false
    .vgpr_count:     40
    .vgpr_spill_count: 0
    .wavefront_size: 64
  - .args:
      - .address_space:  global
        .offset:         0
        .size:           8
        .value_kind:     global_buffer
      - .address_space:  global
        .offset:         8
        .size:           8
        .value_kind:     global_buffer
    .group_segment_fixed_size: 4096
    .kernarg_segment_align: 8
    .kernarg_segment_size: 16
    .language:       OpenCL C
    .language_version:
      - 2
      - 0
    .max_flat_workgroup_size: 256
    .name:           _Z6kernelI4downN15benchmark_utils11custom_typeIddEELj256ELj16ELj100EEvPKT0_PS4_
    .private_segment_fixed_size: 0
    .sgpr_count:     11
    .sgpr_spill_count: 0
    .symbol:         _Z6kernelI4downN15benchmark_utils11custom_typeIddEELj256ELj16ELj100EEvPKT0_PS4_.kd
    .uniform_work_group_size: 1
    .uses_dynamic_stack: false
    .vgpr_count:     72
    .vgpr_spill_count: 0
    .wavefront_size: 64
  - .args:
      - .address_space:  global
        .offset:         0
        .size:           8
        .value_kind:     global_buffer
      - .address_space:  global
        .offset:         8
        .size:           8
        .value_kind:     global_buffer
    .group_segment_fixed_size: 4096
    .kernarg_segment_align: 8
    .kernarg_segment_size: 16
    .language:       OpenCL C
    .language_version:
      - 2
      - 0
    .max_flat_workgroup_size: 256
    .name:           _Z6kernelI4downN15benchmark_utils11custom_typeIddEELj256ELj32ELj100EEvPKT0_PS4_
    .private_segment_fixed_size: 0
    .sgpr_count:     11
    .sgpr_spill_count: 0
    .symbol:         _Z6kernelI4downN15benchmark_utils11custom_typeIddEELj256ELj32ELj100EEvPKT0_PS4_.kd
    .uniform_work_group_size: 1
    .uses_dynamic_stack: false
    .vgpr_count:     136
    .vgpr_spill_count: 0
    .wavefront_size: 64
amdhsa.target:   amdgcn-amd-amdhsa--gfx906
amdhsa.version:
  - 1
  - 2
...

	.end_amdgpu_metadata
